;; amdgpu-corpus repo=ROCm/rocFFT kind=compiled arch=gfx950 opt=O3
	.text
	.amdgcn_target "amdgcn-amd-amdhsa--gfx950"
	.amdhsa_code_object_version 6
	.protected	bluestein_single_back_len1836_dim1_half_op_CI_CI ; -- Begin function bluestein_single_back_len1836_dim1_half_op_CI_CI
	.globl	bluestein_single_back_len1836_dim1_half_op_CI_CI
	.p2align	8
	.type	bluestein_single_back_len1836_dim1_half_op_CI_CI,@function
bluestein_single_back_len1836_dim1_half_op_CI_CI: ; @bluestein_single_back_len1836_dim1_half_op_CI_CI
; %bb.0:
	s_load_dwordx4 s[8:11], s[0:1], 0x28
	v_mul_u32_u24_e32 v1, 0x1ad, v0
	v_mov_b32_e32 v11, 0
	v_add_u32_sdwa v12, s2, v1 dst_sel:DWORD dst_unused:UNUSED_PAD src0_sel:DWORD src1_sel:WORD_1
	v_mov_b32_e32 v13, v11
	s_waitcnt lgkmcnt(0)
	v_cmp_gt_u64_e32 vcc, s[8:9], v[12:13]
	s_and_saveexec_b64 s[2:3], vcc
	s_cbranch_execz .LBB0_15
; %bb.1:
	s_load_dwordx2 s[12:13], s[0:1], 0x0
	s_load_dwordx2 s[14:15], s[0:1], 0x38
	s_movk_i32 s2, 0x99
	v_mul_lo_u16_sdwa v1, v1, s2 dst_sel:DWORD dst_unused:UNUSED_PAD src0_sel:WORD_1 src1_sel:DWORD
	v_sub_u16_e32 v10, v0, v1
	s_movk_i32 s2, 0x6c
	v_cmp_gt_u16_e64 s[2:3], s2, v10
	v_lshlrev_b32_e32 v8, 2, v10
	s_and_saveexec_b64 s[8:9], s[2:3]
	s_cbranch_execz .LBB0_3
; %bb.2:
	s_load_dwordx2 s[4:5], s[0:1], 0x18
	v_mov_b32_e32 v0, s10
	v_mov_b32_e32 v1, s11
	;; [unrolled: 1-line block ×3, first 2 shown]
	s_waitcnt lgkmcnt(0)
	s_load_dwordx4 s[4:7], s[4:5], 0x0
	s_waitcnt lgkmcnt(0)
	v_mad_u64_u32 v[2:3], s[10:11], s6, v12, 0
	v_mad_u64_u32 v[4:5], s[10:11], s4, v10, 0
	v_mov_b32_e32 v6, v3
	v_mov_b32_e32 v14, v5
	v_mad_u64_u32 v[6:7], s[6:7], s7, v12, v[6:7]
	v_mov_b32_e32 v3, v6
	v_mad_u64_u32 v[6:7], s[6:7], s5, v10, v[14:15]
	v_mov_b32_e32 v5, v6
	v_lshl_add_u64 v[0:1], v[2:3], 2, v[0:1]
	v_lshl_add_u64 v[0:1], v[4:5], 2, v[0:1]
	v_mov_b32_e32 v6, 0x1b0
	global_load_dword v4, v[0:1], off
	global_load_dword v5, v8, s[12:13]
	v_mad_u64_u32 v[0:1], s[6:7], s4, v6, v[0:1]
	s_mulk_i32 s5, 0x1b0
	v_add_u32_e32 v1, s5, v1
	global_load_dword v7, v[0:1], off
	global_load_dword v13, v8, s[12:13] offset:432
	v_mad_u64_u32 v[0:1], s[6:7], s4, v6, v[0:1]
	v_add_u32_e32 v1, s5, v1
	global_load_dword v14, v[0:1], off
	global_load_dword v15, v8, s[12:13] offset:864
	v_mad_u64_u32 v[0:1], s[6:7], s4, v6, v[0:1]
	;; [unrolled: 4-line block ×3, first 2 shown]
	v_add_u32_e32 v1, s5, v1
	global_load_dword v18, v8, s[12:13] offset:1728
	global_load_dword v19, v8, s[12:13] offset:2160
	;; [unrolled: 1-line block ×6, first 2 shown]
	global_load_dword v24, v[0:1], off
	s_movk_i32 s10, 0x1000
	v_lshl_add_u64 v[2:3], s[12:13], 0, v[8:9]
	v_mad_u64_u32 v[0:1], s[6:7], s4, v6, v[0:1]
	v_add_co_u32_e32 v2, vcc, s10, v2
	v_add_u32_e32 v1, s5, v1
	s_nop 0
	v_addc_co_u32_e32 v3, vcc, 0, v3, vcc
	global_load_dword v9, v[0:1], off
	global_load_dword v25, v[2:3], off offset:224
	global_load_dword v26, v[2:3], off offset:656
	;; [unrolled: 1-line block ×7, first 2 shown]
	v_mad_u64_u32 v[0:1], s[6:7], s4, v6, v[0:1]
	v_add_u32_e32 v1, s5, v1
	global_load_dword v2, v[0:1], off
	v_mad_u64_u32 v[0:1], s[6:7], s4, v6, v[0:1]
	v_add_u32_e32 v1, s5, v1
	global_load_dword v3, v[0:1], off
	v_mad_u64_u32 v[0:1], s[6:7], s4, v6, v[0:1]
	v_add_u32_e32 v1, s5, v1
	global_load_dword v32, v[0:1], off
	v_mad_u64_u32 v[0:1], s[6:7], s4, v6, v[0:1]
	v_add_u32_e32 v1, s5, v1
	global_load_dword v33, v[0:1], off
	v_mad_u64_u32 v[0:1], s[6:7], s4, v6, v[0:1]
	v_add_u32_e32 v1, s5, v1
	global_load_dword v34, v[0:1], off
	v_mad_u64_u32 v[0:1], s[6:7], s4, v6, v[0:1]
	v_add_u32_e32 v1, s5, v1
	s_waitcnt vmcnt(27)
	v_lshrrev_b32_e32 v35, 16, v4
	s_waitcnt vmcnt(26)
	v_mul_f16_sdwa v36, v5, v4 dst_sel:DWORD dst_unused:UNUSED_PAD src0_sel:WORD_1 src1_sel:DWORD
	v_mul_f16_sdwa v37, v5, v35 dst_sel:DWORD dst_unused:UNUSED_PAD src0_sel:WORD_1 src1_sel:DWORD
	v_fma_f16 v35, v5, v35, -v36
	v_fma_f16 v4, v5, v4, v37
	s_waitcnt vmcnt(25)
	v_lshrrev_b32_e32 v5, 16, v7
	s_waitcnt vmcnt(24)
	v_mul_f16_sdwa v36, v13, v7 dst_sel:DWORD dst_unused:UNUSED_PAD src0_sel:WORD_1 src1_sel:DWORD
	v_pack_b32_f16 v4, v4, v35
	v_mul_f16_sdwa v35, v13, v5 dst_sel:DWORD dst_unused:UNUSED_PAD src0_sel:WORD_1 src1_sel:DWORD
	v_fma_f16 v5, v13, v5, -v36
	v_fma_f16 v7, v13, v7, v35
	v_pack_b32_f16 v5, v7, v5
	ds_write2_b32 v8, v4, v5 offset1:108
	global_load_dword v5, v[0:1], off
	s_waitcnt vmcnt(24)
	v_lshrrev_b32_e32 v13, 16, v14
	s_waitcnt vmcnt(23)
	v_mul_f16_sdwa v7, v15, v13 dst_sel:DWORD dst_unused:UNUSED_PAD src0_sel:WORD_1 src1_sel:DWORD
	v_mad_u64_u32 v[0:1], s[6:7], s4, v6, v[0:1]
	v_fma_f16 v4, v15, v14, v7
	v_mul_f16_sdwa v7, v15, v14 dst_sel:DWORD dst_unused:UNUSED_PAD src0_sel:WORD_1 src1_sel:DWORD
	v_add_u32_e32 v1, s5, v1
	v_fma_f16 v7, v15, v13, -v7
	global_load_dword v13, v[0:1], off
	v_mad_u64_u32 v[0:1], s[6:7], s4, v6, v[0:1]
	v_add_u32_e32 v1, s5, v1
	global_load_dword v15, v[0:1], off
	v_pack_b32_f16 v4, v4, v7
	s_waitcnt vmcnt(24)
	v_lshrrev_b32_e32 v7, 16, v16
	s_waitcnt vmcnt(23)
	v_mul_f16_sdwa v14, v17, v7 dst_sel:DWORD dst_unused:UNUSED_PAD src0_sel:WORD_1 src1_sel:DWORD
	v_mad_u64_u32 v[0:1], s[6:7], s4, v6, v[0:1]
	v_fma_f16 v14, v17, v16, v14
	v_mul_f16_sdwa v16, v17, v16 dst_sel:DWORD dst_unused:UNUSED_PAD src0_sel:WORD_1 src1_sel:DWORD
	v_add_u32_e32 v1, s5, v1
	v_fma_f16 v7, v17, v7, -v16
	global_load_dword v16, v[0:1], off
	v_mad_u64_u32 v[0:1], s[6:7], s4, v6, v[0:1]
	v_pack_b32_f16 v7, v14, v7
	v_add_u32_e32 v14, 0x200, v8
	v_add_u32_e32 v1, s5, v1
	ds_write2_b32 v14, v4, v7 offset0:88 offset1:196
	global_load_dword v7, v[0:1], off
	v_mad_u64_u32 v[0:1], s[6:7], s4, v6, v[0:1]
	v_add_u32_e32 v1, s5, v1
	global_load_dword v0, v[0:1], off
	s_waitcnt vmcnt(19)
	v_lshrrev_b32_e32 v4, 16, v24
	v_mul_f16_sdwa v14, v18, v4 dst_sel:DWORD dst_unused:UNUSED_PAD src0_sel:WORD_1 src1_sel:DWORD
	v_mul_f16_sdwa v17, v18, v24 dst_sel:DWORD dst_unused:UNUSED_PAD src0_sel:WORD_1 src1_sel:DWORD
	v_fma_f16 v14, v18, v24, v14
	v_fma_f16 v4, v18, v4, -v17
	v_pack_b32_f16 v1, v14, v4
	s_waitcnt vmcnt(18)
	v_lshrrev_b32_e32 v4, 16, v9
	v_mul_f16_sdwa v6, v19, v4 dst_sel:DWORD dst_unused:UNUSED_PAD src0_sel:WORD_1 src1_sel:DWORD
	v_fma_f16 v6, v19, v9, v6
	v_mul_f16_sdwa v9, v19, v9 dst_sel:DWORD dst_unused:UNUSED_PAD src0_sel:WORD_1 src1_sel:DWORD
	v_fma_f16 v4, v19, v4, -v9
	v_pack_b32_f16 v4, v6, v4
	v_add_u32_e32 v6, 0x600, v8
	ds_write2_b32 v6, v1, v4 offset0:48 offset1:156
	s_waitcnt vmcnt(10)
	v_lshrrev_b32_e32 v1, 16, v2
	v_mul_f16_sdwa v4, v20, v1 dst_sel:DWORD dst_unused:UNUSED_PAD src0_sel:WORD_1 src1_sel:DWORD
	v_fma_f16 v4, v20, v2, v4
	v_mul_f16_sdwa v2, v20, v2 dst_sel:DWORD dst_unused:UNUSED_PAD src0_sel:WORD_1 src1_sel:DWORD
	v_fma_f16 v1, v20, v1, -v2
	s_waitcnt vmcnt(9)
	v_lshrrev_b32_e32 v2, 16, v3
	v_pack_b32_f16 v1, v4, v1
	v_mul_f16_sdwa v4, v21, v2 dst_sel:DWORD dst_unused:UNUSED_PAD src0_sel:WORD_1 src1_sel:DWORD
	v_fma_f16 v4, v21, v3, v4
	v_mul_f16_sdwa v3, v21, v3 dst_sel:DWORD dst_unused:UNUSED_PAD src0_sel:WORD_1 src1_sel:DWORD
	v_fma_f16 v2, v21, v2, -v3
	v_pack_b32_f16 v2, v4, v2
	v_add_u32_e32 v3, 0x800, v8
	ds_write2_b32 v3, v1, v2 offset0:136 offset1:244
	s_waitcnt vmcnt(8)
	v_lshrrev_b32_e32 v1, 16, v32
	v_mul_f16_sdwa v2, v22, v1 dst_sel:DWORD dst_unused:UNUSED_PAD src0_sel:WORD_1 src1_sel:DWORD
	v_mul_f16_sdwa v3, v22, v32 dst_sel:DWORD dst_unused:UNUSED_PAD src0_sel:WORD_1 src1_sel:DWORD
	v_fma_f16 v2, v22, v32, v2
	v_fma_f16 v1, v22, v1, -v3
	v_pack_b32_f16 v1, v2, v1
	s_waitcnt vmcnt(7)
	v_lshrrev_b32_e32 v2, 16, v33
	v_mul_f16_sdwa v3, v23, v2 dst_sel:DWORD dst_unused:UNUSED_PAD src0_sel:WORD_1 src1_sel:DWORD
	v_mul_f16_sdwa v4, v23, v33 dst_sel:DWORD dst_unused:UNUSED_PAD src0_sel:WORD_1 src1_sel:DWORD
	v_fma_f16 v3, v23, v33, v3
	v_fma_f16 v2, v23, v2, -v4
	v_pack_b32_f16 v2, v3, v2
	v_add_u32_e32 v3, 0xc00, v8
	ds_write2_b32 v3, v1, v2 offset0:96 offset1:204
	s_waitcnt vmcnt(6)
	v_lshrrev_b32_e32 v1, 16, v34
	v_mul_f16_sdwa v2, v25, v1 dst_sel:DWORD dst_unused:UNUSED_PAD src0_sel:WORD_1 src1_sel:DWORD
	v_mul_f16_sdwa v3, v25, v34 dst_sel:DWORD dst_unused:UNUSED_PAD src0_sel:WORD_1 src1_sel:DWORD
	v_fma_f16 v2, v25, v34, v2
	v_fma_f16 v1, v25, v1, -v3
	v_pack_b32_f16 v1, v2, v1
	s_waitcnt vmcnt(5)
	v_lshrrev_b32_e32 v2, 16, v5
	v_mul_f16_sdwa v3, v26, v2 dst_sel:DWORD dst_unused:UNUSED_PAD src0_sel:WORD_1 src1_sel:DWORD
	v_mul_f16_sdwa v4, v26, v5 dst_sel:DWORD dst_unused:UNUSED_PAD src0_sel:WORD_1 src1_sel:DWORD
	v_fma_f16 v3, v26, v5, v3
	;; [unrolled: 16-line block ×4, first 2 shown]
	v_fma_f16 v2, v30, v2, -v4
	v_pack_b32_f16 v2, v3, v2
	v_add_u32_e32 v3, 0x1600, v8
	ds_write2_b32 v3, v1, v2 offset0:104 offset1:212
	s_waitcnt vmcnt(0)
	v_lshrrev_b32_e32 v1, 16, v0
	v_mul_f16_sdwa v2, v31, v1 dst_sel:DWORD dst_unused:UNUSED_PAD src0_sel:WORD_1 src1_sel:DWORD
	v_fma_f16 v2, v31, v0, v2
	v_mul_f16_sdwa v0, v31, v0 dst_sel:DWORD dst_unused:UNUSED_PAD src0_sel:WORD_1 src1_sel:DWORD
	v_fma_f16 v0, v31, v1, -v0
	v_pack_b32_f16 v0, v2, v0
	ds_write_b32 v8, v0 offset:6912
.LBB0_3:
	s_or_b64 exec, exec, s[8:9]
	s_load_dwordx2 s[6:7], s[0:1], 0x20
	s_load_dwordx2 s[4:5], s[0:1], 0x8
	v_mov_b32_e32 v0, 0
	s_waitcnt lgkmcnt(0)
	s_barrier
	s_waitcnt lgkmcnt(0)
                                        ; implicit-def: $vgpr22
                                        ; implicit-def: $vgpr34
                                        ; implicit-def: $vgpr35
                                        ; implicit-def: $vgpr24
                                        ; implicit-def: $vgpr37
                                        ; implicit-def: $vgpr38
                                        ; implicit-def: $vgpr40
                                        ; implicit-def: $vgpr39
                                        ; implicit-def: $vgpr21
                                        ; implicit-def: $vgpr36
                                        ; implicit-def: $vgpr29
                                        ; implicit-def: $vgpr19
                                        ; implicit-def: $vgpr30
                                        ; implicit-def: $vgpr31
                                        ; implicit-def: $vgpr7
                                        ; implicit-def: $vgpr32
                                        ; implicit-def: $vgpr33
                                        ; implicit-def: $vgpr5
                                        ; implicit-def: $vgpr9
                                        ; implicit-def: $vgpr13
                                        ; implicit-def: $vgpr3
                                        ; implicit-def: $vgpr26
                                        ; implicit-def: $vgpr27
                                        ; implicit-def: $vgpr28
	s_and_saveexec_b64 s[0:1], s[2:3]
	s_cbranch_execz .LBB0_5
; %bb.4:
	v_add_u32_e32 v14, 0xc00, v8
	ds_read2_b32 v[18:19], v14 offset0:96 offset1:204
	v_add_u32_e32 v14, 0x1000, v8
	ds_read2_b32 v[20:21], v14 offset0:56 offset1:164
	v_add_u32_e32 v14, 0x1400, v8
	v_add_u32_e32 v2, 0x200, v8
	;; [unrolled: 1-line block ×4, first 2 shown]
	ds_read2_b32 v[22:23], v14 offset0:16 offset1:124
	v_add_u32_e32 v14, 0x1600, v8
	ds_read2_b32 v[0:1], v8 offset1:108
	ds_read2_b32 v[2:3], v2 offset0:88 offset1:196
	ds_read2_b32 v[4:5], v4 offset0:48 offset1:156
	;; [unrolled: 1-line block ×4, first 2 shown]
	ds_read_b32 v40, v8 offset:6912
	s_waitcnt lgkmcnt(5)
	v_lshrrev_b32_e32 v28, 16, v1
	s_waitcnt lgkmcnt(4)
	v_lshrrev_b32_e32 v27, 16, v2
	v_lshrrev_b32_e32 v26, 16, v3
	s_waitcnt lgkmcnt(3)
	v_lshrrev_b32_e32 v13, 16, v4
	;; [unrolled: 3-line block ×3, first 2 shown]
	v_lshrrev_b32_e32 v32, 16, v7
	v_lshrrev_b32_e32 v31, 16, v18
	v_lshrrev_b32_e32 v30, 16, v19
	v_lshrrev_b32_e32 v29, 16, v20
	v_lshrrev_b32_e32 v36, 16, v21
	v_lshrrev_b32_e32 v34, 16, v22
	v_lshrrev_b32_e32 v35, 16, v23
	s_waitcnt lgkmcnt(1)
	v_lshrrev_b32_e32 v37, 16, v24
	v_lshrrev_b32_e32 v38, 16, v25
	s_waitcnt lgkmcnt(0)
	v_lshrrev_b32_e32 v39, 16, v40
.LBB0_5:
	s_or_b64 exec, exec, s[0:1]
	v_sub_f16_e32 v90, v28, v39
	v_add_f16_e32 v58, v40, v1
	s_movk_i32 s8, 0x39e9
	v_mul_f16_e32 v41, 0xb964, v90
	v_sub_f16_e32 v99, v27, v38
	v_fma_f16 v14, v58, s8, v41
	s_movk_i32 s9, 0x3722
	v_mul_f16_e32 v43, 0xbb29, v90
	s_movk_i32 s11, 0x2de8
	v_add_f16_e32 v61, v25, v2
	v_mul_f16_e32 v42, 0xbbf7, v99
	v_add_f16_e32 v14, v14, v0
	v_fma_f16 v15, v58, s9, v43
	v_fma_f16 v16, v61, s11, v42
	s_mov_b32 s18, 0xb8d2
	v_mul_f16_e32 v45, 0xba62, v99
	v_sub_f16_e32 v107, v26, v37
	v_add_f16_e32 v15, v15, v0
	v_add_f16_e32 v14, v16, v14
	v_fma_f16 v16, v61, s18, v45
	v_add_f16_e32 v62, v24, v3
	v_mul_f16_e32 v44, 0xba62, v107
	v_add_f16_e32 v15, v16, v15
	s_mov_b32 s17, 0xbbdd
	v_fma_f16 v16, v62, s18, v44
	v_mul_f16_e32 v47, 0x31e1, v107
	v_sub_f16_e32 v120, v13, v35
	v_add_f16_e32 v14, v16, v14
	v_fma_f16 v16, v62, s17, v47
	v_add_f16_e32 v63, v23, v4
	v_mul_f16_e32 v46, 0xb1e1, v120
	s_mov_b32 s16, 0xb461
	v_add_f16_e32 v15, v16, v15
	v_fma_f16 v16, v63, s17, v46
	v_mul_f16_e32 v55, 0x3bb2, v120
	v_sub_f16_e32 v130, v9, v34
	s_mov_b32 s19, 0xbacd
	v_add_f16_e32 v14, v16, v14
	v_fma_f16 v16, v63, s16, v55
	v_add_f16_e32 v64, v22, v5
	v_mul_f16_e32 v54, 0x3836, v130
	v_add_f16_e32 v15, v16, v15
	v_fma_f16 v16, v64, s19, v54
	v_mul_f16_e32 v57, 0x3964, v130
	v_sub_f16_e32 v138, v33, v36
	v_add_f16_e32 v14, v16, v14
	v_fma_f16 v16, v64, s8, v57
	v_add_f16_e32 v67, v21, v6
	v_mul_f16_e32 v56, 0x3bb2, v138
	s_movk_i32 s10, 0x3b76
	v_add_f16_e32 v15, v16, v15
	v_fma_f16 v16, v67, s16, v56
	v_mul_f16_e32 v60, 0xb5c8, v138
	v_sub_f16_e32 v143, v32, v29
	v_add_f16_e32 v14, v16, v14
	v_fma_f16 v16, v67, s10, v60
	v_add_f16_e32 v68, v20, v7
	v_mul_f16_e32 v59, 0x3b29, v143
	v_add_f16_e32 v15, v16, v15
	v_fma_f16 v16, v68, s9, v59
	v_mul_f16_e32 v66, 0xbbf7, v143
	v_sub_f16_e32 v147, v31, v30
	v_add_f16_e32 v14, v16, v14
	v_fma_f16 v16, v68, s11, v66
	v_add_f16_e32 v72, v19, v18
	v_mul_f16_e32 v65, 0x35c8, v147
	v_add_f16_e32 v16, v16, v15
	v_fma_f16 v15, v72, s10, v65
	v_mul_f16_e32 v69, 0xb836, v147
	v_add_f16_e32 v15, v15, v14
	v_fma_f16 v14, v72, s19, v69
	;; [unrolled: 3-line block ×19, first 2 shown]
	v_mul_f16_e32 v71, 0xb964, v99
	v_sub_f16_e32 v149, v1, v40
	v_add_f16_e32 v48, v48, v0
	v_fma_f16 v49, v61, s8, v71
	v_add_f16_e32 v139, v39, v28
	v_mul_f16_e32 v73, 0xb5c8, v149
	v_sub_f16_e32 v150, v2, v25
	v_add_f16_e32 v48, v49, v48
	v_fma_f16 v49, v139, s10, -v73
	v_add_f16_e32 v133, v38, v27
	v_mul_f16_e32 v74, 0xb964, v150
	v_add_f16_sdwa v49, v49, v0 dst_sel:DWORD dst_unused:UNUSED_PAD src0_sel:DWORD src1_sel:WORD_1
	v_fma_f16 v50, v133, s8, -v74
	v_mul_f16_e32 v78, 0xb964, v149
	v_add_f16_e32 v49, v50, v49
	v_fma_f16 v50, v139, s8, -v78
	v_mul_f16_e32 v79, 0xbbf7, v150
	v_add_f16_sdwa v50, v50, v0 dst_sel:DWORD dst_unused:UNUSED_PAD src0_sel:DWORD src1_sel:WORD_1
	v_fma_f16 v51, v133, s11, -v79
	v_mul_f16_e32 v94, 0xbb29, v149
	v_add_f16_e32 v50, v51, v50
	v_fma_f16 v51, v139, s9, -v94
	;; [unrolled: 6-line block ×4, first 2 shown]
	v_mul_f16_e32 v146, 0x3836, v150
	v_add_f16_sdwa v53, v53, v0 dst_sel:DWORD dst_unused:UNUSED_PAD src0_sel:DWORD src1_sel:WORD_1
	v_fma_f16 v75, v133, s19, -v146
	v_add_f16_e32 v53, v75, v53
	v_mul_f16_e32 v75, 0xbb29, v107
	v_sub_f16_e32 v153, v3, v24
	v_fma_f16 v76, v62, s9, v75
	v_add_f16_e32 v134, v37, v26
	v_mul_f16_e32 v77, 0xbb29, v153
	v_add_f16_e32 v48, v76, v48
	v_fma_f16 v76, v134, s9, -v77
	v_mul_f16_e32 v92, 0xba62, v153
	v_add_f16_e32 v49, v76, v49
	v_fma_f16 v76, v134, s18, -v92
	v_mul_f16_e32 v101, 0x31e1, v153
	v_add_f16_e32 v50, v76, v50
	v_fma_f16 v76, v134, s17, -v101
	v_mul_f16_e32 v132, 0x3bb2, v153
	v_add_f16_e32 v51, v76, v51
	v_fma_f16 v76, v134, s16, -v132
	v_mul_f16_e32 v148, 0x3964, v153
	v_add_f16_e32 v52, v76, v52
	v_fma_f16 v76, v134, s8, -v148
	v_add_f16_e32 v53, v76, v53
	v_mul_f16_e32 v76, 0xbbf7, v120
	v_sub_f16_e32 v156, v4, v23
	v_fma_f16 v80, v63, s11, v76
	v_add_f16_e32 v129, v35, v13
	v_mul_f16_e32 v87, 0xbbf7, v156
	v_add_f16_e32 v48, v80, v48
	v_fma_f16 v80, v129, s11, -v87
	v_mul_f16_e32 v97, 0xb1e1, v156
	v_add_f16_e32 v49, v80, v49
	v_fma_f16 v80, v129, s17, -v97
	v_mul_f16_e32 v104, 0x3bb2, v156
	v_add_f16_e32 v50, v80, v50
	v_fma_f16 v80, v129, s16, -v104
	v_mul_f16_e32 v135, 0x35c8, v156
	v_add_f16_e32 v51, v80, v51
	v_fma_f16 v80, v129, s10, -v135
	v_mul_f16_e32 v151, 0xbb29, v156
	v_add_f16_e32 v52, v80, v52
	;; [unrolled: 20-line block ×5, first 2 shown]
	v_fma_f16 v51, v126, s10, -v155
	v_mul_f16_e32 v100, 0xb1e1, v147
	v_sub_f16_e32 v161, v18, v19
	v_add_f16_e32 v53, v51, v53
	v_fma_f16 v51, v72, s17, v100
	v_add_f16_e32 v131, v30, v31
	v_mul_f16_e32 v106, 0xb1e1, v161
	v_add_f16_e32 v51, v51, v48
	v_fma_f16 v48, v131, s17, -v106
	v_mul_f16_e32 v117, 0x35c8, v161
	v_add_f16_e32 v48, v48, v49
	v_fma_f16 v49, v131, s10, -v117
	;; [unrolled: 3-line block ×5, first 2 shown]
	v_add_f16_e32 v53, v128, v53
	s_mov_b32 s22, 0xb5c8
	s_mov_b32 s20, 0xb964
	;; [unrolled: 1-line block ×7, first 2 shown]
	s_movk_i32 s35, 0x3836
	s_movk_i32 s36, 0x31e1
	;; [unrolled: 1-line block ×5, first 2 shown]
	s_mov_b32 s26, 0xb836
	s_movk_i32 s24, 0x3bf7
	s_movk_i32 s23, 0x3b29
	;; [unrolled: 1-line block ×3, first 2 shown]
	s_barrier
	s_and_saveexec_b64 s[0:1], s[2:3]
	s_cbranch_execz .LBB0_7
; %bb.6:
	v_mul_f16_e32 v162, 0xb8d2, v139
	v_fma_f16 v128, v149, s31, v162
	v_mul_f16_e32 v163, 0xb461, v133
	v_add_f16_sdwa v128, v128, v0 dst_sel:DWORD dst_unused:UNUSED_PAD src0_sel:DWORD src1_sel:WORD_1
	v_fma_f16 v136, v150, s28, v163
	v_mul_f16_e32 v164, 0x3b76, v134
	v_add_f16_e32 v128, v136, v128
	v_fma_f16 v136, v153, s33, v164
	v_mul_f16_e32 v165, 0xbacd, v129
	v_add_f16_e32 v128, v136, v128
	;; [unrolled: 3-line block ×15, first 2 shown]
	v_fma_f16 v141, v149, s35, v178
	v_mul_f16_e32 v179, 0x3722, v133
	v_add_f16_sdwa v141, v141, v0 dst_sel:DWORD dst_unused:UNUSED_PAD src0_sel:DWORD src1_sel:WORD_1
	v_fma_f16 v180, v150, s34, v179
	v_add_f16_e32 v141, v180, v141
	v_mul_f16_e32 v180, 0x2de8, v134
	v_fma_f16 v181, v153, s24, v180
	v_add_f16_e32 v141, v181, v141
	v_mul_f16_e32 v181, 0xb8d2, v129
	;; [unrolled: 3-line block ×7, first 2 shown]
	v_fma_f16 v187, v58, s19, v186
	v_mul_f16_e32 v188, 0x3b29, v99
	v_add_f16_e32 v187, v187, v0
	v_fma_f16 v189, v61, s9, v188
	v_add_f16_e32 v187, v189, v187
	v_mul_f16_e32 v189, 0xbbf7, v107
	v_fma_f16 v190, v62, s11, v189
	v_add_f16_e32 v187, v190, v187
	v_mul_f16_e32 v190, 0x3a62, v120
	;; [unrolled: 3-line block ×7, first 2 shown]
	v_fma_f16 v196, v149, s36, v195
	v_mul_f16_e32 v197, 0x3b76, v133
	v_add_f16_sdwa v196, v196, v0 dst_sel:DWORD dst_unused:UNUSED_PAD src0_sel:DWORD src1_sel:WORD_1
	v_fma_f16 v198, v150, s22, v197
	v_add_f16_e32 v196, v198, v196
	v_mul_f16_e32 v198, 0xbacd, v134
	v_fma_f16 v199, v153, s35, v198
	v_add_f16_e32 v196, v199, v196
	v_mul_f16_e32 v199, 0x39e9, v129
	;; [unrolled: 3-line block ×6, first 2 shown]
	v_fma_f16 v204, v161, s30, v203
	v_mul_f16_e32 v90, 0xb1e1, v90
	v_add_f16_e32 v196, v204, v196
	v_fma_f16 v204, v58, s17, v90
	v_mul_f16_e32 v99, 0x35c8, v99
	v_fma_f16 v90, v58, s17, -v90
	v_fma_f16 v205, v61, s10, v99
	v_mul_f16_e32 v107, 0xb836, v107
	v_add_f16_e32 v90, v90, v0
	v_fma_f16 v99, v61, s10, -v99
	v_mul_f16_e32 v120, 0x3964, v120
	v_add_f16_e32 v90, v99, v90
	v_fma_f16 v99, v62, s19, -v107
	;; [unrolled: 3-line block ×6, first 2 shown]
	v_add_f16_e32 v90, v99, v90
	v_fma_f16 v99, v72, s11, -v147
	v_add_f16_e32 v204, v204, v0
	v_add_f16_e32 v90, v99, v90
	v_fma_f16 v99, v149, s26, v178
	v_add_f16_e32 v204, v205, v204
	v_fma_f16 v205, v62, s19, v107
	v_add_f16_sdwa v99, v99, v0 dst_sel:DWORD dst_unused:UNUSED_PAD src0_sel:DWORD src1_sel:WORD_1
	v_fma_f16 v107, v150, s23, v179
	v_add_f16_e32 v99, v107, v99
	v_fma_f16 v107, v153, s30, v180
	v_add_f16_e32 v99, v107, v99
	;; [unrolled: 2-line block ×7, first 2 shown]
	v_fma_f16 v107, v58, s19, -v186
	v_add_f16_e32 v204, v205, v204
	v_fma_f16 v205, v63, s8, v120
	v_add_f16_e32 v107, v107, v0
	v_fma_f16 v120, v61, s9, -v188
	v_add_f16_e32 v107, v120, v107
	v_fma_f16 v120, v62, s11, -v189
	;; [unrolled: 2-line block ×7, first 2 shown]
	v_add_f16_e32 v107, v120, v107
	v_fma_f16 v120, v149, s25, v162
	v_add_f16_e32 v204, v205, v204
	v_fma_f16 v205, v64, s18, v130
	v_fma_f16 v130, v150, s27, v163
	v_add_f16_sdwa v120, v120, v0 dst_sel:DWORD dst_unused:UNUSED_PAD src0_sel:DWORD src1_sel:WORD_1
	v_add_f16_e32 v120, v130, v120
	v_fma_f16 v130, v153, s22, v164
	v_add_f16_e32 v120, v130, v120
	v_fma_f16 v130, v156, s26, v165
	;; [unrolled: 2-line block ×6, first 2 shown]
	v_add_f16_e32 v120, v130, v120
	v_fma_f16 v130, v58, s18, -v170
	v_add_f16_e32 v204, v205, v204
	v_fma_f16 v205, v67, s9, v138
	v_add_f16_e32 v130, v130, v0
	v_fma_f16 v138, v61, s16, -v171
	v_add_f16_e32 v130, v138, v130
	v_fma_f16 v138, v62, s10, -v172
	;; [unrolled: 2-line block ×4, first 2 shown]
	v_add_f16_e32 v204, v205, v204
	v_fma_f16 v205, v68, s16, v143
	v_add_f16_e32 v130, v138, v130
	v_fma_f16 v143, v67, s8, -v175
	v_add_f16_e32 v204, v205, v204
	v_fma_f16 v205, v72, s11, v147
	v_add_f16_e32 v130, v143, v130
	v_fma_f16 v147, v68, s17, -v176
	v_fma_f16 v195, v149, s21, v195
	v_add_f16_e32 v130, v147, v130
	v_fma_f16 v149, v72, s9, -v177
	v_add_f16_e32 v130, v149, v130
	v_mul_f16_e32 v149, 0xb461, v139
	v_add_f16_e32 v145, v145, v149
	v_mul_f16_e32 v149, 0xbacd, v133
	v_add_f16_e32 v146, v146, v149
	v_add_f16_sdwa v145, v145, v0 dst_sel:DWORD dst_unused:UNUSED_PAD src0_sel:DWORD src1_sel:WORD_1
	v_add_f16_e32 v145, v146, v145
	v_mul_f16_e32 v146, 0x39e9, v134
	v_add_f16_e32 v146, v148, v146
	v_add_f16_e32 v145, v146, v145
	v_mul_f16_e32 v146, 0x3722, v129
	v_mul_f16_e32 v138, 0x3b76, v58
	;; [unrolled: 1-line block ×4, first 2 shown]
	v_add_f16_e32 v146, v151, v146
	v_mul_f16_e32 v151, 0x2de8, v58
	v_mul_f16_e32 v58, 0xb461, v58
	v_sub_f16_e32 v58, v58, v118
	v_mul_f16_e32 v118, 0xbacd, v61
	v_sub_f16_e32 v115, v118, v115
	v_add_f16_e32 v58, v58, v0
	v_add_f16_e32 v58, v115, v58
	v_mul_f16_e32 v115, 0x39e9, v62
	v_sub_f16_e32 v111, v115, v111
	v_add_f16_e32 v58, v111, v58
	v_mul_f16_e32 v111, 0x3722, v63
	v_add_f16_e32 v145, v146, v145
	v_mul_f16_e32 v146, 0xbbdd, v125
	v_sub_f16_e32 v110, v111, v110
	v_add_f16_e32 v146, v152, v146
	v_add_f16_e32 v58, v110, v58
	v_mul_f16_e32 v110, 0xbbdd, v64
	v_add_f16_e32 v145, v146, v145
	v_mul_f16_e32 v146, 0x2de8, v124
	v_sub_f16_e32 v110, v110, v112
	v_add_f16_e32 v146, v154, v146
	;; [unrolled: 6-line block ×3, first 2 shown]
	v_add_f16_e32 v58, v110, v58
	v_mul_f16_e32 v110, 0x3b76, v68
	v_add_f16_e32 v145, v146, v145
	v_mul_f16_e32 v146, 0xb8d2, v131
	v_sub_f16_e32 v110, v110, v116
	v_add_f16_sdwa v195, v195, v0 dst_sel:DWORD dst_unused:UNUSED_PAD src0_sel:DWORD src1_sel:WORD_1
	v_fma_f16 v197, v150, s33, v197
	v_mul_f16_e32 v143, 0x3b76, v139
	v_mul_f16_e32 v149, 0x39e9, v139
	v_mul_f16_e32 v150, 0x3722, v139
	v_mul_f16_e32 v139, 0x2de8, v139
	v_add_f16_e32 v146, v157, v146
	v_add_f16_e32 v58, v110, v58
	v_mul_f16_e32 v110, 0xb8d2, v72
	v_add_f16_e32 v195, v197, v195
	v_fma_f16 v197, v153, s26, v198
	v_mul_f16_e32 v153, 0x39e9, v133
	v_add_f16_e32 v145, v146, v145
	v_mul_f16_e32 v146, 0x2de8, v133
	v_mul_f16_e32 v115, 0xb8d2, v133
	;; [unrolled: 1-line block ×3, first 2 shown]
	v_sub_f16_e32 v110, v110, v119
	v_add_f16_e32 v123, v123, v139
	v_mul_f16_e32 v112, 0x3722, v134
	v_mul_f16_e32 v116, 0xb8d2, v134
	v_add_f16_e32 v58, v110, v58
	v_mul_f16_e32 v110, 0xbbdd, v134
	v_mul_f16_e32 v134, 0xb461, v134
	v_add_f16_e32 v122, v122, v133
	v_add_f16_sdwa v123, v123, v0 dst_sel:DWORD dst_unused:UNUSED_PAD src0_sel:DWORD src1_sel:WORD_1
	v_add_f16_e32 v122, v122, v123
	v_add_f16_e32 v132, v132, v134
	;; [unrolled: 1-line block ×3, first 2 shown]
	v_mul_f16_e32 v132, 0x3b76, v129
	v_add_f16_e32 v132, v135, v132
	v_add_f16_e32 v122, v132, v122
	v_mul_f16_e32 v132, 0x3722, v125
	v_add_f16_e32 v132, v137, v132
	v_add_f16_e32 v122, v132, v122
	;; [unrolled: 3-line block ×3, first 2 shown]
	v_mul_f16_e32 v132, 0xb8d2, v126
	v_mul_f16_e32 v152, 0x39e9, v61
	v_mul_f16_e32 v154, 0x2de8, v61
	v_mul_f16_e32 v118, 0xb8d2, v61
	v_mul_f16_e32 v61, 0xbbdd, v61
	v_add_f16_e32 v132, v142, v132
	v_sub_f16_e32 v88, v151, v88
	v_mul_f16_e32 v111, 0x3722, v62
	v_mul_f16_e32 v114, 0xb8d2, v62
	;; [unrolled: 1-line block ×4, first 2 shown]
	v_add_f16_e32 v122, v132, v122
	v_mul_f16_e32 v132, 0x39e9, v131
	v_sub_f16_e32 v61, v61, v85
	v_add_f16_e32 v88, v88, v0
	v_mul_f16_e32 v139, 0x2de8, v63
	v_mul_f16_e32 v123, 0xbbdd, v63
	;; [unrolled: 1-line block ×4, first 2 shown]
	v_add_f16_e32 v132, v144, v132
	v_add_f16_e32 v61, v61, v88
	v_sub_f16_e32 v62, v62, v86
	v_sub_f16_e32 v41, v147, v41
	v_mul_f16_e32 v137, 0xb461, v64
	v_mul_f16_e32 v142, 0xbacd, v64
	v_add_f16_e32 v122, v132, v122
	v_mul_f16_e32 v132, 0x39e9, v64
	v_mul_f16_e32 v64, 0x3722, v64
	v_add_f16_e32 v61, v62, v61
	v_sub_f16_e32 v63, v63, v83
	v_add_f16_e32 v41, v41, v0
	v_sub_f16_e32 v42, v154, v42
	v_mul_f16_e32 v151, 0xb8d2, v67
	v_mul_f16_e32 v88, 0xb461, v67
	;; [unrolled: 1-line block ×4, first 2 shown]
	v_add_f16_e32 v61, v63, v61
	v_sub_f16_e32 v64, v64, v84
	v_add_f16_e32 v41, v42, v41
	v_sub_f16_e32 v42, v114, v44
	v_mul_f16_e32 v83, 0xbacd, v68
	v_mul_f16_e32 v84, 0x3722, v68
	v_add_f16_e32 v61, v64, v61
	v_sub_f16_e32 v67, v67, v81
	v_mul_f16_e32 v81, 0x2de8, v68
	v_mul_f16_e32 v68, 0xb8d2, v68
	v_add_f16_e32 v41, v42, v41
	v_sub_f16_e32 v42, v123, v46
	v_add_f16_e32 v61, v67, v61
	v_sub_f16_e32 v68, v68, v82
	;; [unrolled: 2-line block ×3, first 2 shown]
	v_add_f16_e32 v61, v68, v61
	v_mul_f16_e32 v68, 0x39e9, v72
	v_add_f16_e32 v41, v42, v41
	v_sub_f16_e32 v42, v88, v56
	v_sub_f16_e32 v68, v68, v89
	v_mul_f16_e32 v89, 0x3b76, v72
	v_add_f16_e32 v41, v42, v41
	v_sub_f16_e32 v42, v84, v59
	v_add_f16_e32 v41, v42, v41
	v_sub_f16_e32 v42, v89, v65
	v_sub_f16_e32 v43, v148, v43
	v_add_f16_e32 v41, v42, v41
	v_add_f16_e32 v42, v73, v143
	;; [unrolled: 1-line block ×3, first 2 shown]
	v_sub_f16_e32 v45, v118, v45
	v_add_f16_sdwa v42, v42, v0 dst_sel:DWORD dst_unused:UNUSED_PAD src0_sel:DWORD src1_sel:WORD_1
	v_add_f16_e32 v44, v74, v153
	v_mul_f16_e32 v133, 0x2de8, v129
	v_add_f16_e32 v43, v45, v43
	v_sub_f16_e32 v45, v119, v47
	v_add_f16_e32 v42, v44, v42
	v_add_f16_e32 v44, v77, v112
	v_mul_f16_e32 v140, 0xb461, v125
	v_add_f16_e32 v43, v45, v43
	v_sub_f16_e32 v45, v135, v55
	v_add_f16_e32 v42, v44, v42
	;; [unrolled: 5-line block ×4, first 2 shown]
	v_add_f16_e32 v44, v98, v85
	v_mul_f16_e32 v67, 0xbbdd, v72
	v_mul_f16_e32 v82, 0xbbdd, v131
	;; [unrolled: 1-line block ×3, first 2 shown]
	v_add_f16_e32 v43, v45, v43
	v_sub_f16_e32 v45, v81, v66
	v_add_f16_e32 v42, v44, v42
	v_add_f16_e32 v44, v103, v63
	;; [unrolled: 1-line block ×3, first 2 shown]
	v_sub_f16_e32 v45, v72, v69
	v_add_f16_e32 v42, v44, v42
	v_add_f16_e32 v44, v106, v82
	;; [unrolled: 1-line block ×6, first 2 shown]
	v_sub_f16_e32 v44, v138, v70
	v_add_f16_sdwa v94, v94, v0 dst_sel:DWORD dst_unused:UNUSED_PAD src0_sel:DWORD src1_sel:WORD_1
	v_add_f16_sdwa v45, v45, v0 dst_sel:DWORD dst_unused:UNUSED_PAD src0_sel:DWORD src1_sel:WORD_1
	v_add_f16_e32 v44, v44, v0
	v_add_f16_e32 v1, v1, v0
	v_add_f16_sdwa v0, v28, v0 dst_sel:DWORD dst_unused:UNUSED_PAD src0_sel:DWORD src1_sel:WORD_1
	v_add_f16_e32 v1, v2, v1
	v_add_f16_e32 v0, v27, v0
	;; [unrolled: 1-line block ×14, first 2 shown]
	v_sub_f16_e32 v46, v152, v71
	v_add_f16_e32 v1, v19, v1
	v_add_f16_e32 v0, v30, v0
	v_add_f16_e32 v95, v95, v115
	v_add_f16_e32 v47, v79, v146
	v_add_f16_e32 v44, v46, v44
	v_sub_f16_e32 v46, v111, v75
	v_add_f16_e32 v1, v20, v1
	v_add_f16_e32 v0, v29, v0
	v_mul_f16_e32 v134, 0xbbdd, v129
	v_mul_f16_e32 v129, 0xb461, v129
	v_add_f16_e32 v94, v95, v94
	v_add_f16_e32 v95, v101, v110
	v_add_f16_e32 v45, v47, v45
	v_add_f16_e32 v47, v92, v116
	v_add_f16_e32 v44, v46, v44
	v_sub_f16_e32 v46, v139, v76
	v_add_f16_e32 v1, v21, v1
	v_add_f16_e32 v0, v36, v0
	v_mul_f16_e32 v144, 0xbacd, v125
	v_mul_f16_e32 v125, 0x39e9, v125
	;; [unrolled: 10-line block ×4, first 2 shown]
	v_add_f16_e32 v94, v95, v94
	v_add_f16_e32 v95, v113, v124
	;; [unrolled: 1-line block ×5, first 2 shown]
	v_sub_f16_e32 v46, v83, v96
	v_add_f16_e32 v1, v24, v1
	v_add_f16_e32 v0, v37, v0
	;; [unrolled: 1-line block ×3, first 2 shown]
	v_fma_f16 v197, v156, s29, v199
	v_add_f16_e32 v61, v68, v61
	v_mul_f16_e32 v68, 0x3b76, v131
	v_mul_f16_e32 v131, 0xbacd, v131
	v_add_f16_e32 v94, v95, v94
	v_add_f16_e32 v95, v121, v126
	;; [unrolled: 1-line block ×5, first 2 shown]
	v_sub_f16_e32 v46, v67, v100
	v_add_f16_e32 v1, v25, v1
	v_add_f16_e32 v0, v38, v0
	v_add_f16_e32 v195, v197, v195
	v_fma_f16 v197, v158, s25, v200
	v_add_f16_e32 v94, v95, v94
	v_add_f16_e32 v95, v127, v131
	;; [unrolled: 1-line block ×7, first 2 shown]
	v_mul_lo_u16_e32 v2, 17, v10
	v_add_f16_e32 v195, v197, v195
	v_fma_f16 v197, v159, s23, v201
	v_add_f16_e32 v94, v95, v94
	v_add_f16_e32 v45, v47, v45
	v_lshlrev_b32_e32 v2, 2, v2
	v_pack_b32_f16 v3, v44, v42
	v_pack_b32_f16 v0, v1, v0
	v_add_f16_e32 v195, v197, v195
	v_fma_f16 v197, v160, s28, v202
	ds_write2_b32 v2, v0, v3 offset1:1
	v_pack_b32_f16 v0, v43, v94
	v_pack_b32_f16 v1, v41, v45
	v_add_f16_e32 v195, v197, v195
	v_fma_f16 v197, v161, s24, v203
	ds_write2_b32 v2, v1, v0 offset0:2 offset1:3
	v_pack_b32_f16 v0, v58, v145
	v_pack_b32_f16 v1, v61, v122
	v_add_f16_e32 v204, v205, v204
	v_add_f16_e32 v195, v197, v195
	ds_write2_b32 v2, v1, v0 offset0:4 offset1:5
	v_pack_b32_f16 v0, v107, v99
	v_pack_b32_f16 v1, v130, v120
	ds_write2_b32 v2, v1, v0 offset0:6 offset1:7
	v_pack_b32_f16 v0, v204, v196
	v_pack_b32_f16 v1, v90, v195
	;; [unrolled: 3-line block ×3, first 2 shown]
	s_mov_b32 s8, 0x5040100
	ds_write2_b32 v2, v1, v0 offset0:10 offset1:11
	v_perm_b32 v0, v52, v17, s8
	v_perm_b32 v1, v53, v16, s8
	ds_write2_b32 v2, v1, v0 offset0:12 offset1:13
	v_perm_b32 v0, v49, v15, s8
	v_perm_b32 v1, v50, v14, s8
	ds_write2_b32 v2, v1, v0 offset0:14 offset1:15
	v_perm_b32 v0, v48, v51, s8
	ds_write_b32 v2, v0 offset:64
.LBB0_7:
	s_or_b64 exec, exec, s[0:1]
	s_mov_b64 s[0:1], 0x99
	v_lshl_add_u64 v[0:1], v[10:11], 0, s[0:1]
	s_movk_i32 s0, 0xf1
	v_mul_lo_u16_sdwa v1, v10, s0 dst_sel:DWORD dst_unused:UNUSED_PAD src0_sel:BYTE_0 src1_sel:DWORD
	s_mov_b32 s0, 0xf0f1
	v_lshrrev_b16_e32 v1, 12, v1
	v_mul_u32_u24_sdwa v3, v0, s0 dst_sel:DWORD dst_unused:UNUSED_PAD src0_sel:WORD_0 src1_sel:DWORD
	v_mul_lo_u16_e32 v2, 17, v1
	v_lshrrev_b32_e32 v32, 20, v3
	v_sub_u16_e32 v2, v10, v2
	v_mul_lo_u16_e32 v3, 17, v32
	v_and_b32_e32 v11, 0xff, v2
	v_sub_u16_e32 v33, v0, v3
	v_add_u32_e32 v38, 0x132, v10
	v_lshlrev_b32_e32 v2, 3, v11
	v_lshlrev_b16_e32 v3, 1, v33
	s_load_dwordx4 s[8:11], s[6:7], 0x0
	s_waitcnt lgkmcnt(0)
	s_barrier
	global_load_dwordx2 v[18:19], v2, s[4:5]
	v_lshlrev_b32_e32 v2, 2, v3
	v_mul_u32_u24_sdwa v3, v38, s0 dst_sel:DWORD dst_unused:UNUSED_PAD src0_sel:WORD_0 src1_sel:DWORD
	v_lshrrev_b32_e32 v34, 20, v3
	v_mul_lo_u16_e32 v3, 17, v34
	v_sub_u16_e32 v35, v38, v3
	v_lshlrev_b16_e32 v3, 1, v35
	v_add_u32_e32 v39, 0x1cb, v10
	v_lshlrev_b32_e32 v3, 2, v3
	global_load_dwordx2 v[20:21], v2, s[4:5]
	global_load_dwordx2 v[24:25], v3, s[4:5]
	v_mul_u32_u24_sdwa v2, v39, s0 dst_sel:DWORD dst_unused:UNUSED_PAD src0_sel:WORD_0 src1_sel:DWORD
	v_lshrrev_b32_e32 v36, 20, v2
	v_mul_lo_u16_e32 v2, 17, v36
	v_sub_u16_e32 v37, v39, v2
	v_lshlrev_b16_e32 v2, 1, v37
	v_lshlrev_b32_e32 v2, 2, v2
	global_load_dwordx2 v[22:23], v2, s[4:5]
	v_mov_b32_e32 v2, 2
	v_lshlrev_b32_sdwa v13, v2, v10 dst_sel:DWORD dst_unused:UNUSED_PAD src0_sel:DWORD src1_sel:WORD_0
	v_add_u32_e32 v85, 0x800, v13
	ds_read2_b32 v[2:3], v13 offset1:153
	v_add_u32_e32 v9, 0x1200, v13
	v_add_u32_e32 v87, 0x400, v13
	;; [unrolled: 1-line block ×4, first 2 shown]
	ds_read2_b32 v[4:5], v85 offset0:100 offset1:253
	ds_read2_b32 v[6:7], v9 offset0:72 offset1:225
	;; [unrolled: 1-line block ×5, first 2 shown]
	s_waitcnt lgkmcnt(4)
	v_lshrrev_b32_e32 v42, 16, v4
	v_lshrrev_b32_e32 v44, 16, v5
	s_waitcnt lgkmcnt(3)
	v_lshrrev_b32_e32 v43, 16, v6
	s_waitcnt lgkmcnt(1)
	;; [unrolled: 2-line block ×3, first 2 shown]
	v_lshrrev_b32_e32 v57, 16, v31
	v_lshrrev_b32_e32 v45, 16, v7
	v_lshrrev_b32_e32 v40, 16, v2
	s_movk_i32 s1, 0x3aee
	s_mov_b32 s0, 0xbaee
	v_lshrrev_b32_e32 v47, 16, v28
	v_lshrrev_b32_e32 v54, 16, v30
	;; [unrolled: 1-line block ×4, first 2 shown]
	v_mul_u32_u24_e32 v1, 51, v1
	v_lshrrev_b32_e32 v55, 16, v27
	s_barrier
	s_movk_i32 s6, 0xa1
	s_waitcnt vmcnt(3)
	v_mul_f16_sdwa v58, v42, v18 dst_sel:DWORD dst_unused:UNUSED_PAD src0_sel:DWORD src1_sel:WORD_1
	v_mul_f16_sdwa v59, v4, v18 dst_sel:DWORD dst_unused:UNUSED_PAD src0_sel:DWORD src1_sel:WORD_1
	v_fma_f16 v4, v4, v18, -v58
	v_mul_f16_sdwa v60, v43, v19 dst_sel:DWORD dst_unused:UNUSED_PAD src0_sel:DWORD src1_sel:WORD_1
	v_fma_f16 v42, v42, v18, v59
	v_mul_f16_sdwa v61, v6, v19 dst_sel:DWORD dst_unused:UNUSED_PAD src0_sel:DWORD src1_sel:WORD_1
	v_fma_f16 v6, v6, v19, -v60
	v_fma_f16 v43, v43, v19, v61
	s_waitcnt vmcnt(2)
	v_mul_f16_sdwa v58, v44, v20 dst_sel:DWORD dst_unused:UNUSED_PAD src0_sel:DWORD src1_sel:WORD_1
	v_mul_f16_sdwa v59, v5, v20 dst_sel:DWORD dst_unused:UNUSED_PAD src0_sel:DWORD src1_sel:WORD_1
	v_fma_f16 v5, v5, v20, -v58
	v_fma_f16 v44, v44, v20, v59
	v_add_f16_e32 v59, v4, v6
	v_mul_f16_sdwa v60, v45, v21 dst_sel:DWORD dst_unused:UNUSED_PAD src0_sel:DWORD src1_sel:WORD_1
	v_mul_f16_sdwa v61, v7, v21 dst_sel:DWORD dst_unused:UNUSED_PAD src0_sel:DWORD src1_sel:WORD_1
	v_fma_f16 v7, v7, v21, -v60
	s_waitcnt vmcnt(0)
	v_mul_f16_sdwa v66, v56, v22 dst_sel:DWORD dst_unused:UNUSED_PAD src0_sel:DWORD src1_sel:WORD_1
	v_fma_f16 v58, v29, v22, -v66
	v_mul_f16_sdwa v29, v29, v22 dst_sel:DWORD dst_unused:UNUSED_PAD src0_sel:DWORD src1_sel:WORD_1
	v_fma_f16 v29, v56, v22, v29
	v_mul_f16_sdwa v56, v57, v23 dst_sel:DWORD dst_unused:UNUSED_PAD src0_sel:DWORD src1_sel:WORD_1
	v_fma_f16 v56, v31, v23, -v56
	v_mul_f16_sdwa v31, v31, v23 dst_sel:DWORD dst_unused:UNUSED_PAD src0_sel:DWORD src1_sel:WORD_1
	v_fma_f16 v31, v57, v23, v31
	v_add_f16_e32 v57, v2, v4
	v_fma_f16 v2, v59, -0.5, v2
	v_sub_f16_e32 v59, v42, v43
	v_fma_f16 v60, v59, s1, v2
	v_fma_f16 v2, v59, s0, v2
	v_add_f16_e32 v59, v40, v42
	v_add_f16_e32 v42, v42, v43
	v_fma_f16 v45, v45, v21, v61
	v_fma_f16 v40, v42, -0.5, v40
	v_sub_f16_e32 v4, v4, v6
	v_add_f16_e32 v42, v5, v7
	v_mul_f16_sdwa v62, v47, v24 dst_sel:DWORD dst_unused:UNUSED_PAD src0_sel:DWORD src1_sel:WORD_1
	v_mul_f16_sdwa v64, v54, v25 dst_sel:DWORD dst_unused:UNUSED_PAD src0_sel:DWORD src1_sel:WORD_1
	v_add_f16_e32 v57, v57, v6
	v_fma_f16 v6, v4, s0, v40
	v_fma_f16 v4, v4, s1, v40
	v_add_f16_e32 v40, v3, v5
	v_fma_f16 v3, v42, -0.5, v3
	v_sub_f16_e32 v42, v44, v45
	v_mul_f16_sdwa v63, v28, v24 dst_sel:DWORD dst_unused:UNUSED_PAD src0_sel:DWORD src1_sel:WORD_1
	v_mul_f16_sdwa v65, v30, v25 dst_sel:DWORD dst_unused:UNUSED_PAD src0_sel:DWORD src1_sel:WORD_1
	v_fma_f16 v28, v28, v24, -v62
	v_fma_f16 v30, v30, v25, -v64
	v_add_f16_e32 v59, v59, v43
	v_fma_f16 v43, v42, s1, v3
	v_fma_f16 v3, v42, s0, v3
	v_add_f16_e32 v42, v41, v44
	v_add_f16_e32 v44, v44, v45
	v_fma_f16 v47, v47, v24, v63
	v_fma_f16 v54, v54, v25, v65
	v_fma_f16 v41, v44, -0.5, v41
	v_sub_f16_e32 v5, v5, v7
	v_add_f16_e32 v44, v28, v30
	v_add_f16_e32 v40, v40, v7
	v_fma_f16 v7, v5, s0, v41
	v_fma_f16 v5, v5, s1, v41
	v_add_f16_e32 v41, v26, v28
	v_fma_f16 v26, v44, -0.5, v26
	v_sub_f16_e32 v44, v47, v54
	v_add_f16_e32 v42, v42, v45
	v_fma_f16 v45, v44, s1, v26
	v_fma_f16 v26, v44, s0, v26
	v_add_f16_e32 v44, v46, v47
	v_add_f16_e32 v47, v47, v54
	;; [unrolled: 1-line block ×3, first 2 shown]
	v_fma_f16 v46, v47, -0.5, v46
	v_sub_f16_e32 v28, v28, v30
	v_add_f16_e32 v47, v58, v56
	v_add_lshl_u32 v54, v1, v11, 2
	v_pack_b32_f16 v1, v57, v59
	v_pack_b32_f16 v6, v60, v6
	v_add_f16_e32 v41, v41, v30
	v_fma_f16 v30, v28, s0, v46
	v_fma_f16 v28, v28, s1, v46
	v_add_f16_e32 v46, v27, v58
	v_fma_f16 v27, v47, -0.5, v27
	v_sub_f16_e32 v47, v29, v31
	ds_write2_b32 v54, v1, v6 offset1:17
	v_pack_b32_f16 v1, v2, v4
	v_fma_f16 v61, v47, s1, v27
	v_fma_f16 v27, v47, s0, v27
	v_add_f16_e32 v47, v55, v29
	v_add_f16_e32 v29, v29, v31
	ds_write_b32 v54, v1 offset:136
	v_mad_legacy_u16 v1, v32, 51, v33
	v_fma_f16 v29, v29, -0.5, v55
	v_lshlrev_b32_e32 v55, 2, v1
	v_pack_b32_f16 v1, v40, v42
	v_pack_b32_f16 v2, v43, v7
	ds_write2_b32 v55, v1, v2 offset1:17
	v_pack_b32_f16 v1, v3, v5
	ds_write_b32 v55, v1 offset:136
	v_mad_legacy_u16 v1, v34, 51, v35
	v_add_f16_e32 v46, v46, v56
	v_add_f16_e32 v47, v47, v31
	v_sub_f16_e32 v31, v58, v56
	v_lshlrev_b32_e32 v56, 2, v1
	v_pack_b32_f16 v1, v41, v44
	v_pack_b32_f16 v2, v45, v30
	ds_write2_b32 v56, v1, v2 offset1:17
	v_pack_b32_f16 v1, v26, v28
	v_fma_f16 v58, v31, s0, v29
	ds_write_b32 v56, v1 offset:136
	v_mad_legacy_u16 v1, v36, 51, v37
	v_fma_f16 v29, v31, s1, v29
	v_lshlrev_b32_e32 v57, 2, v1
	v_pack_b32_f16 v1, v46, v47
	v_pack_b32_f16 v2, v61, v58
	ds_write2_b32 v57, v1, v2 offset1:17
	v_pack_b32_f16 v1, v27, v29
	ds_write_b32 v57, v1 offset:136
	v_mul_lo_u16_sdwa v1, v10, s6 dst_sel:DWORD dst_unused:UNUSED_PAD src0_sel:BYTE_0 src1_sel:DWORD
	v_lshrrev_b16_e32 v11, 13, v1
	v_mul_lo_u16_e32 v1, 51, v11
	v_sub_u16_e32 v1, v10, v1
	v_and_b32_e32 v40, 0xff, v1
	v_lshlrev_b32_e32 v1, 3, v40
	s_mov_b32 s6, 0xa0a1
	s_waitcnt lgkmcnt(0)
	s_barrier
	global_load_dwordx2 v[26:27], v1, s[4:5] offset:136
	v_mul_u32_u24_sdwa v1, v0, s6 dst_sel:DWORD dst_unused:UNUSED_PAD src0_sel:WORD_0 src1_sel:DWORD
	v_lshrrev_b32_e32 v41, 21, v1
	v_mul_lo_u16_e32 v1, 51, v41
	v_sub_u16_e32 v42, v0, v1
	v_lshlrev_b16_e32 v46, 3, v42
	v_mov_b32_e32 v47, 0
	v_lshl_add_u64 v[0:1], s[4:5], 0, v[46:47]
	global_load_dwordx2 v[28:29], v[0:1], off offset:136
	v_mul_u32_u24_sdwa v0, v38, s6 dst_sel:DWORD dst_unused:UNUSED_PAD src0_sel:WORD_0 src1_sel:DWORD
	v_lshrrev_b32_e32 v43, 21, v0
	v_mul_lo_u16_e32 v0, 51, v43
	v_sub_u16_e32 v44, v38, v0
	v_lshlrev_b16_e32 v46, 3, v44
	v_lshl_add_u64 v[0:1], s[4:5], 0, v[46:47]
	global_load_dwordx2 v[30:31], v[0:1], off offset:136
	v_mul_u32_u24_sdwa v0, v39, s6 dst_sel:DWORD dst_unused:UNUSED_PAD src0_sel:WORD_0 src1_sel:DWORD
	v_lshrrev_b32_e32 v45, 21, v0
	v_mul_lo_u16_e32 v0, 51, v45
	v_sub_u16_e32 v58, v39, v0
	v_lshlrev_b16_e32 v46, 3, v58
	v_lshl_add_u64 v[0:1], s[4:5], 0, v[46:47]
	global_load_dwordx2 v[32:33], v[0:1], off offset:136
	ds_read2_b32 v[0:1], v13 offset1:153
	ds_read2_b32 v[2:3], v85 offset0:100 offset1:253
	ds_read2_b32 v[4:5], v9 offset0:72 offset1:225
	;; [unrolled: 1-line block ×5, first 2 shown]
	v_mul_u32_u24_e32 v11, 0x99, v11
	s_waitcnt lgkmcnt(5)
	v_lshrrev_b32_e32 v46, 16, v0
	s_waitcnt lgkmcnt(4)
	v_lshrrev_b32_e32 v61, 16, v2
	;; [unrolled: 2-line block ×3, first 2 shown]
	v_lshrrev_b32_e32 v64, 16, v3
	v_lshrrev_b32_e32 v65, 16, v5
	s_waitcnt lgkmcnt(1)
	v_lshrrev_b32_e32 v67, 16, v34
	s_waitcnt lgkmcnt(0)
	v_lshrrev_b32_e32 v68, 16, v36
	v_lshrrev_b32_e32 v70, 16, v35
	;; [unrolled: 1-line block ×6, first 2 shown]
	s_movk_i32 s6, 0x99
	s_barrier
	v_add_u32_e32 v59, 0x264, v10
	v_add_u32_e32 v60, 0x2fd, v10
	s_waitcnt vmcnt(3)
	v_mul_f16_sdwa v72, v61, v26 dst_sel:DWORD dst_unused:UNUSED_PAD src0_sel:DWORD src1_sel:WORD_1
	v_fma_f16 v72, v2, v26, -v72
	v_mul_f16_sdwa v2, v2, v26 dst_sel:DWORD dst_unused:UNUSED_PAD src0_sel:DWORD src1_sel:WORD_1
	v_fma_f16 v2, v61, v26, v2
	v_mul_f16_sdwa v61, v62, v27 dst_sel:DWORD dst_unused:UNUSED_PAD src0_sel:DWORD src1_sel:WORD_1
	v_fma_f16 v61, v4, v27, -v61
	v_mul_f16_sdwa v4, v4, v27 dst_sel:DWORD dst_unused:UNUSED_PAD src0_sel:DWORD src1_sel:WORD_1
	v_fma_f16 v4, v62, v27, v4
	s_waitcnt vmcnt(2)
	v_mul_f16_sdwa v62, v64, v28 dst_sel:DWORD dst_unused:UNUSED_PAD src0_sel:DWORD src1_sel:WORD_1
	v_fma_f16 v62, v3, v28, -v62
	v_mul_f16_sdwa v3, v3, v28 dst_sel:DWORD dst_unused:UNUSED_PAD src0_sel:DWORD src1_sel:WORD_1
	v_fma_f16 v3, v64, v28, v3
	v_mul_f16_sdwa v64, v65, v29 dst_sel:DWORD dst_unused:UNUSED_PAD src0_sel:DWORD src1_sel:WORD_1
	v_fma_f16 v64, v5, v29, -v64
	v_mul_f16_sdwa v5, v5, v29 dst_sel:DWORD dst_unused:UNUSED_PAD src0_sel:DWORD src1_sel:WORD_1
	v_fma_f16 v5, v65, v29, v5
	;; [unrolled: 9-line block ×3, first 2 shown]
	s_waitcnt vmcnt(0)
	v_mul_f16_sdwa v68, v70, v32 dst_sel:DWORD dst_unused:UNUSED_PAD src0_sel:DWORD src1_sel:WORD_1
	v_fma_f16 v68, v35, v32, -v68
	v_mul_f16_sdwa v35, v35, v32 dst_sel:DWORD dst_unused:UNUSED_PAD src0_sel:DWORD src1_sel:WORD_1
	v_fma_f16 v35, v70, v32, v35
	v_mul_f16_sdwa v70, v71, v33 dst_sel:DWORD dst_unused:UNUSED_PAD src0_sel:DWORD src1_sel:WORD_1
	v_fma_f16 v70, v37, v33, -v70
	v_mul_f16_sdwa v37, v37, v33 dst_sel:DWORD dst_unused:UNUSED_PAD src0_sel:DWORD src1_sel:WORD_1
	v_add_f16_e32 v73, v72, v61
	v_fma_f16 v37, v71, v33, v37
	v_add_f16_e32 v71, v0, v72
	v_fma_f16 v0, v73, -0.5, v0
	v_sub_f16_e32 v73, v2, v4
	v_fma_f16 v74, v73, s1, v0
	v_fma_f16 v0, v73, s0, v0
	v_add_f16_e32 v73, v46, v2
	v_add_f16_e32 v2, v2, v4
	;; [unrolled: 1-line block ×4, first 2 shown]
	v_fma_f16 v2, v2, -0.5, v46
	v_sub_f16_e32 v4, v72, v61
	v_add_f16_e32 v61, v62, v64
	v_fma_f16 v46, v4, s0, v2
	v_fma_f16 v2, v4, s1, v2
	v_add_f16_e32 v4, v1, v62
	v_fma_f16 v1, v61, -0.5, v1
	v_sub_f16_e32 v61, v3, v5
	v_fma_f16 v72, v61, s1, v1
	v_fma_f16 v1, v61, s0, v1
	v_add_f16_e32 v61, v63, v3
	v_add_f16_e32 v3, v3, v5
	;; [unrolled: 1-line block ×3, first 2 shown]
	v_fma_f16 v3, v3, -0.5, v63
	v_sub_f16_e32 v5, v62, v64
	v_add_f16_e32 v62, v65, v67
	v_add_f16_e32 v4, v4, v64
	v_fma_f16 v64, v5, s0, v3
	v_fma_f16 v3, v5, s1, v3
	v_add_f16_e32 v5, v6, v65
	v_fma_f16 v6, v62, -0.5, v6
	v_sub_f16_e32 v62, v34, v36
	v_fma_f16 v75, v62, s1, v6
	v_fma_f16 v6, v62, s0, v6
	v_add_f16_e32 v62, v66, v34
	v_add_f16_e32 v34, v34, v36
	;; [unrolled: 1-line block ×3, first 2 shown]
	v_fma_f16 v34, v34, -0.5, v66
	v_sub_f16_e32 v36, v65, v67
	v_add_f16_e32 v62, v68, v70
	v_fma_f16 v65, v36, s0, v34
	v_fma_f16 v34, v36, s1, v34
	v_add_f16_e32 v36, v7, v68
	v_fma_f16 v7, v62, -0.5, v7
	v_sub_f16_e32 v62, v35, v37
	v_fma_f16 v66, v62, s1, v7
	v_fma_f16 v7, v62, s0, v7
	v_add_f16_e32 v62, v69, v35
	v_add_f16_e32 v5, v5, v67
	;; [unrolled: 1-line block ×4, first 2 shown]
	v_add_lshl_u32 v62, v11, v40, 2
	v_pack_b32_f16 v0, v0, v2
	v_fma_f16 v35, v35, -0.5, v69
	v_sub_f16_e32 v37, v68, v70
	ds_write_b32 v62, v0 offset:408
	v_mad_legacy_u16 v0, v41, s6, v42
	v_fma_f16 v68, v37, s0, v35
	v_fma_f16 v35, v37, s1, v35
	v_pack_b32_f16 v11, v71, v73
	v_pack_b32_f16 v37, v74, v46
	v_lshlrev_b32_e32 v63, 2, v0
	v_pack_b32_f16 v0, v4, v61
	v_pack_b32_f16 v2, v72, v64
	ds_write2_b32 v62, v11, v37 offset1:51
	ds_write2_b32 v63, v0, v2 offset1:51
	v_pack_b32_f16 v0, v1, v3
	ds_write_b32 v63, v0 offset:408
	v_mad_legacy_u16 v0, v43, s6, v44
	v_lshlrev_b32_e32 v64, 2, v0
	v_pack_b32_f16 v0, v5, v76
	v_pack_b32_f16 v1, v75, v65
	ds_write2_b32 v64, v0, v1 offset1:51
	v_pack_b32_f16 v0, v6, v34
	v_add_f16_e32 v36, v36, v70
	ds_write_b32 v64, v0 offset:408
	v_mad_legacy_u16 v0, v45, s6, v58
	v_lshlrev_b32_e32 v65, 2, v0
	v_pack_b32_f16 v0, v36, v67
	v_pack_b32_f16 v1, v66, v68
	ds_write2_b32 v65, v0, v1 offset1:51
	v_pack_b32_f16 v0, v7, v35
	s_movk_i32 s6, 0x358b
	ds_write_b32 v65, v0 offset:408
	v_mul_u32_u24_sdwa v0, v38, s6 dst_sel:DWORD dst_unused:UNUSED_PAD src0_sel:WORD_0 src1_sel:DWORD
	v_lshrrev_b32_e32 v0, 21, v0
	v_mul_lo_u16_e32 v0, 0x99, v0
	v_sub_u16_e32 v0, v38, v0
	v_lshlrev_b32_e32 v46, 2, v0
	v_mul_u32_u24_sdwa v0, v39, s6 dst_sel:DWORD dst_unused:UNUSED_PAD src0_sel:WORD_0 src1_sel:DWORD
	v_lshrrev_b32_e32 v0, 21, v0
	v_lshlrev_b32_e32 v11, 2, v10
	v_mul_lo_u16_e32 v0, 0x99, v0
	s_waitcnt lgkmcnt(0)
	s_barrier
	global_load_dword v61, v11, s[4:5] offset:544
	global_load_dword v67, v46, s[4:5] offset:544
	v_sub_u16_e32 v0, v39, v0
	v_lshlrev_b32_e32 v58, 2, v0
	global_load_dword v68, v58, s[4:5] offset:544
	v_mul_u32_u24_sdwa v0, v59, s6 dst_sel:DWORD dst_unused:UNUSED_PAD src0_sel:WORD_0 src1_sel:DWORD
	v_lshrrev_b32_e32 v0, 21, v0
	v_mul_lo_u16_e32 v0, 0x99, v0
	v_sub_u16_e32 v0, v59, v0
	v_lshlrev_b32_e32 v59, 2, v0
	global_load_dword v66, v59, s[4:5] offset:544
	v_mul_u32_u24_sdwa v0, v60, s6 dst_sel:DWORD dst_unused:UNUSED_PAD src0_sel:WORD_0 src1_sel:DWORD
	v_lshrrev_b32_e32 v0, 21, v0
	v_mul_lo_u16_e32 v0, 0x99, v0
	v_sub_u16_e32 v0, v60, v0
	v_lshlrev_b32_e32 v60, 2, v0
	global_load_dword v69, v60, s[4:5] offset:544
	ds_read2_b32 v[0:1], v13 offset1:153
	ds_read2_b32 v[2:3], v86 offset0:22 offset1:175
	ds_read2_b32 v[6:7], v9 offset0:72 offset1:225
	;; [unrolled: 1-line block ×5, first 2 shown]
	s_waitcnt lgkmcnt(5)
	v_lshrrev_b32_e32 v38, 16, v0
	s_waitcnt lgkmcnt(4)
	v_lshrrev_b32_e32 v39, 16, v2
	v_lshrrev_b32_e32 v41, 16, v3
	s_waitcnt lgkmcnt(3)
	v_lshrrev_b32_e32 v43, 16, v6
	;; [unrolled: 3-line block ×3, first 2 shown]
	v_lshrrev_b32_e32 v73, 16, v37
	v_lshrrev_b32_e32 v40, 16, v1
	;; [unrolled: 1-line block ×5, first 2 shown]
	s_barrier
	v_lshrrev_b32_e32 v72, 16, v35
	s_waitcnt vmcnt(4)
	v_mul_f16_sdwa v74, v39, v61 dst_sel:DWORD dst_unused:UNUSED_PAD src0_sel:DWORD src1_sel:WORD_1
	v_fma_f16 v74, v2, v61, -v74
	v_mul_f16_sdwa v2, v2, v61 dst_sel:DWORD dst_unused:UNUSED_PAD src0_sel:DWORD src1_sel:WORD_1
	v_fma_f16 v2, v39, v61, v2
	v_mul_f16_sdwa v39, v41, v61 dst_sel:DWORD dst_unused:UNUSED_PAD src0_sel:DWORD src1_sel:WORD_1
	v_fma_f16 v39, v3, v61, -v39
	v_mul_f16_sdwa v3, v3, v61 dst_sel:DWORD dst_unused:UNUSED_PAD src0_sel:DWORD src1_sel:WORD_1
	v_fma_f16 v3, v41, v61, v3
	s_waitcnt vmcnt(3)
	v_mul_f16_sdwa v41, v43, v67 dst_sel:DWORD dst_unused:UNUSED_PAD src0_sel:DWORD src1_sel:WORD_1
	v_fma_f16 v41, v6, v67, -v41
	v_mul_f16_sdwa v6, v6, v67 dst_sel:DWORD dst_unused:UNUSED_PAD src0_sel:DWORD src1_sel:WORD_1
	v_fma_f16 v6, v43, v67, v6
	s_waitcnt vmcnt(2)
	;; [unrolled: 5-line block ×4, first 2 shown]
	v_mul_f16_sdwa v71, v73, v69 dst_sel:DWORD dst_unused:UNUSED_PAD src0_sel:DWORD src1_sel:WORD_1
	v_fma_f16 v71, v37, v69, -v71
	v_mul_f16_sdwa v37, v37, v69 dst_sel:DWORD dst_unused:UNUSED_PAD src0_sel:DWORD src1_sel:WORD_1
	v_fma_f16 v37, v73, v69, v37
	v_sub_f16_e32 v73, v0, v74
	v_sub_f16_e32 v2, v38, v2
	v_fma_f16 v0, v0, 2.0, -v73
	v_fma_f16 v38, v38, 2.0, -v2
	v_sub_f16_e32 v39, v1, v39
	v_sub_f16_e32 v3, v40, v3
	v_fma_f16 v1, v1, 2.0, -v39
	v_fma_f16 v40, v40, 2.0, -v3
	v_sub_f16_e32 v41, v4, v41
	v_sub_f16_e32 v6, v42, v6
	v_pack_b32_f16 v0, v0, v38
	v_pack_b32_f16 v2, v73, v2
	v_fma_f16 v4, v4, 2.0, -v41
	v_fma_f16 v42, v42, 2.0, -v6
	v_sub_f16_e32 v43, v5, v43
	v_sub_f16_e32 v7, v44, v7
	ds_write2_b32 v13, v0, v2 offset1:153
	v_pack_b32_f16 v0, v1, v40
	v_pack_b32_f16 v1, v39, v3
	v_fma_f16 v5, v5, 2.0, -v43
	v_fma_f16 v44, v44, 2.0, -v7
	v_sub_f16_e32 v45, v34, v45
	v_sub_f16_e32 v36, v70, v36
	ds_write2_b32 v87, v0, v1 offset0:50 offset1:203
	v_pack_b32_f16 v0, v4, v42
	v_pack_b32_f16 v1, v41, v6
	v_add_u32_e32 v2, 0x800, v46
	v_fma_f16 v34, v34, 2.0, -v45
	v_fma_f16 v70, v70, 2.0, -v36
	v_sub_f16_e32 v71, v35, v71
	v_sub_f16_e32 v37, v72, v37
	ds_write2_b32 v2, v0, v1 offset0:100 offset1:253
	v_pack_b32_f16 v0, v5, v44
	v_pack_b32_f16 v1, v43, v7
	v_add_u32_e32 v2, 0xe00, v58
	v_fma_f16 v35, v35, 2.0, -v71
	v_fma_f16 v72, v72, 2.0, -v37
	ds_write2_b32 v2, v0, v1 offset0:22 offset1:175
	v_pack_b32_f16 v0, v34, v70
	v_pack_b32_f16 v1, v45, v36
	v_add_u32_e32 v2, 0x1200, v59
	ds_write2_b32 v2, v0, v1 offset0:72 offset1:225
	v_pack_b32_f16 v0, v35, v72
	v_pack_b32_f16 v1, v71, v37
	v_add_u32_e32 v2, 0x1700, v60
	v_mad_u64_u32 v[4:5], s[4:5], v10, 20, s[4:5]
	ds_write2_b32 v2, v0, v1 offset0:58 offset1:211
	s_waitcnt lgkmcnt(0)
	s_barrier
	global_load_dwordx4 v[0:3], v[4:5], off offset:1156
	global_load_dword v70, v[4:5], off offset:1172
	s_mov_b64 s[4:5], 0xbf4
	v_lshl_add_u64 v[34:35], v[4:5], 0, s[4:5]
	global_load_dwordx4 v[4:7], v[34:35], off offset:1156
	global_load_dword v71, v[34:35], off offset:1172
	ds_read2_b32 v[40:41], v13 offset1:153
	ds_read2_b32 v[34:35], v87 offset0:50 offset1:203
	ds_read2_b32 v[36:37], v85 offset0:100 offset1:253
	;; [unrolled: 1-line block ×5, first 2 shown]
	s_waitcnt lgkmcnt(4)
	v_lshrrev_b32_e32 v73, 16, v34
	s_waitcnt lgkmcnt(3)
	v_lshrrev_b32_e32 v74, 16, v36
	s_waitcnt lgkmcnt(2)
	v_lshrrev_b32_e32 v75, 16, v38
	s_waitcnt lgkmcnt(1)
	v_lshrrev_b32_e32 v76, 16, v42
	s_waitcnt lgkmcnt(0)
	v_lshrrev_b32_e32 v77, 16, v44
	v_lshrrev_b32_e32 v79, 16, v35
	v_lshrrev_b32_e32 v80, 16, v37
	;; [unrolled: 1-line block ×7, first 2 shown]
	s_waitcnt vmcnt(3)
	v_mul_f16_sdwa v88, v73, v0 dst_sel:DWORD dst_unused:UNUSED_PAD src0_sel:DWORD src1_sel:WORD_1
	v_fma_f16 v88, v34, v0, -v88
	v_mul_f16_sdwa v34, v34, v0 dst_sel:DWORD dst_unused:UNUSED_PAD src0_sel:DWORD src1_sel:WORD_1
	v_fma_f16 v34, v73, v0, v34
	v_mul_f16_sdwa v73, v74, v1 dst_sel:DWORD dst_unused:UNUSED_PAD src0_sel:DWORD src1_sel:WORD_1
	v_fma_f16 v73, v36, v1, -v73
	v_mul_f16_sdwa v36, v36, v1 dst_sel:DWORD dst_unused:UNUSED_PAD src0_sel:DWORD src1_sel:WORD_1
	v_fma_f16 v36, v74, v1, v36
	;; [unrolled: 4-line block ×4, first 2 shown]
	s_waitcnt vmcnt(2)
	v_mul_f16_sdwa v76, v77, v70 dst_sel:DWORD dst_unused:UNUSED_PAD src0_sel:DWORD src1_sel:WORD_1
	v_fma_f16 v76, v44, v70, -v76
	v_mul_f16_sdwa v44, v44, v70 dst_sel:DWORD dst_unused:UNUSED_PAD src0_sel:DWORD src1_sel:WORD_1
	v_fma_f16 v44, v77, v70, v44
	s_waitcnt vmcnt(1)
	v_mul_f16_sdwa v77, v79, v4 dst_sel:DWORD dst_unused:UNUSED_PAD src0_sel:DWORD src1_sel:WORD_1
	v_fma_f16 v89, v35, v4, -v77
	v_mul_f16_sdwa v35, v35, v4 dst_sel:DWORD dst_unused:UNUSED_PAD src0_sel:DWORD src1_sel:WORD_1
	v_fma_f16 v79, v79, v4, v35
	v_mul_f16_sdwa v35, v80, v5 dst_sel:DWORD dst_unused:UNUSED_PAD src0_sel:DWORD src1_sel:WORD_1
	v_fma_f16 v90, v37, v5, -v35
	v_mul_f16_sdwa v35, v37, v5 dst_sel:DWORD dst_unused:UNUSED_PAD src0_sel:DWORD src1_sel:WORD_1
	v_fma_f16 v80, v80, v5, v35
	;; [unrolled: 4-line block ×4, first 2 shown]
	s_waitcnt vmcnt(0)
	v_mul_f16_sdwa v35, v83, v71 dst_sel:DWORD dst_unused:UNUSED_PAD src0_sel:DWORD src1_sel:WORD_1
	v_fma_f16 v82, v45, v71, -v35
	v_mul_f16_sdwa v35, v45, v71 dst_sel:DWORD dst_unused:UNUSED_PAD src0_sel:DWORD src1_sel:WORD_1
	v_fma_f16 v45, v83, v71, v35
	v_add_f16_e32 v35, v40, v73
	v_add_f16_e32 v37, v35, v75
	v_add_f16_e32 v35, v73, v75
	v_fma_f16 v35, v35, -0.5, v40
	v_sub_f16_e32 v39, v36, v42
	v_fma_f16 v40, v39, s1, v35
	v_fma_f16 v39, v39, s0, v35
	v_add_f16_e32 v35, v72, v36
	v_add_f16_e32 v77, v35, v42
	v_add_f16_e32 v35, v36, v42
	v_fma_f16 v35, v35, -0.5, v72
	v_sub_f16_e32 v36, v73, v75
	v_fma_f16 v42, v36, s0, v35
	v_fma_f16 v83, v36, s1, v35
	v_add_f16_e32 v35, v88, v74
	v_add_f16_e32 v75, v35, v76
	v_add_f16_e32 v35, v74, v76
	v_fma_f16 v35, v35, -0.5, v88
	v_sub_f16_e32 v36, v38, v44
	v_fma_f16 v73, v36, s1, v35
	v_fma_f16 v88, v36, s0, v35
	v_add_f16_e32 v35, v34, v38
	v_add_f16_e32 v93, v35, v44
	v_add_f16_e32 v35, v38, v44
	v_fma_f16 v34, v35, -0.5, v34
	v_sub_f16_e32 v35, v74, v76
	v_fma_f16 v38, v35, s0, v34
	v_fma_f16 v44, v35, s1, v34
	v_mul_f16_e32 v35, 0x3aee, v38
	v_fma_f16 v76, v73, 0.5, v35
	v_mul_f16_e32 v73, 0xbaee, v73
	v_mul_f16_e32 v36, -0.5, v88
	v_fma_f16 v95, v38, 0.5, v73
	v_mul_f16_e32 v38, -0.5, v44
	v_add_f16_e32 v35, v40, v76
	v_fma_f16 v94, v44, s1, v36
	v_fma_f16 v44, v88, s0, v38
	v_sub_f16_e32 v38, v40, v76
	v_add_f16_e32 v40, v41, v90
	v_add_f16_e32 v34, v37, v75
	;; [unrolled: 1-line block ×4, first 2 shown]
	v_sub_f16_e32 v37, v37, v75
	v_sub_f16_e32 v75, v77, v93
	;; [unrolled: 1-line block ×3, first 2 shown]
	v_add_f16_e32 v44, v40, v92
	v_add_f16_e32 v40, v90, v92
	v_fma_f16 v40, v40, -0.5, v41
	v_sub_f16_e32 v41, v80, v43
	v_fma_f16 v83, v41, s1, v40
	v_fma_f16 v88, v41, s0, v40
	v_add_f16_e32 v40, v78, v80
	v_add_f16_e32 v93, v40, v43
	v_add_f16_e32 v40, v80, v43
	v_fma_f16 v40, v40, -0.5, v78
	v_sub_f16_e32 v41, v90, v92
	v_fma_f16 v90, v41, s0, v40
	v_fma_f16 v92, v41, s1, v40
	v_add_f16_e32 v40, v89, v91
	v_add_f16_e32 v43, v40, v82
	v_add_f16_e32 v40, v91, v82
	v_fma_f16 v40, v40, -0.5, v89
	v_sub_f16_e32 v41, v81, v45
	v_fma_f16 v80, v41, s1, v40
	v_fma_f16 v89, v41, s0, v40
	v_add_f16_e32 v40, v79, v81
	v_add_f16_e32 v36, v39, v94
	v_sub_f16_e32 v39, v39, v94
	v_add_f16_e32 v94, v40, v45
	v_add_f16_e32 v40, v81, v45
	v_fma_f16 v40, v40, -0.5, v79
	v_sub_f16_e32 v41, v91, v82
	v_fma_f16 v45, v41, s0, v40
	v_add_f16_e32 v73, v42, v95
	v_sub_f16_e32 v76, v42, v95
	v_fma_f16 v81, v41, s1, v40
	v_mul_f16_e32 v41, 0x3aee, v45
	v_mul_f16_e32 v42, -0.5, v89
	v_mul_f16_e32 v79, 0xbaee, v80
	v_add_f16_e32 v40, v44, v43
	v_fma_f16 v82, v80, 0.5, v41
	v_fma_f16 v91, v81, s1, v42
	v_add_f16_e32 v78, v93, v94
	v_fma_f16 v95, v45, 0.5, v79
	v_mul_f16_e32 v45, -0.5, v81
	v_add_f16_e32 v41, v83, v82
	v_add_f16_e32 v42, v88, v91
	;; [unrolled: 1-line block ×3, first 2 shown]
	v_fma_f16 v89, v89, s0, v45
	v_sub_f16_e32 v45, v88, v91
	v_sub_f16_e32 v81, v93, v94
	v_pack_b32_f16 v88, v34, v72
	v_pack_b32_f16 v94, v40, v78
	v_add_f16_e32 v80, v92, v89
	v_sub_f16_e32 v43, v44, v43
	v_sub_f16_e32 v44, v83, v82
	;; [unrolled: 1-line block ×3, first 2 shown]
	v_pack_b32_f16 v89, v35, v73
	ds_write2_b32 v13, v88, v94 offset1:153
	v_pack_b32_f16 v88, v41, v79
	v_sub_f16_e32 v82, v90, v95
	v_pack_b32_f16 v90, v36, v74
	ds_write2_b32 v87, v89, v88 offset0:50 offset1:203
	v_pack_b32_f16 v87, v42, v80
	v_pack_b32_f16 v91, v37, v75
	ds_write2_b32 v85, v90, v87 offset0:100 offset1:253
	v_pack_b32_f16 v85, v43, v81
	;; [unrolled: 3-line block ×4, first 2 shown]
	ds_write2_b32 v84, v93, v9 offset0:58 offset1:211
	s_waitcnt lgkmcnt(0)
	s_barrier
	s_and_saveexec_b64 s[0:1], s[2:3]
	s_cbranch_execz .LBB0_9
; %bb.8:
	v_mov_b32_e32 v9, v47
	v_lshl_add_u64 v[84:85], s[12:13], 0, v[8:9]
	v_add_co_u32_e32 v86, vcc, 0x1000, v84
	s_mov_b64 s[4:5], 0x1cb0
	s_nop 0
	v_addc_co_u32_e32 v87, vcc, 0, v85, vcc
	global_load_dword v9, v[86:87], off offset:3248
	v_lshl_add_u64 v[86:87], v[84:85], 0, s[4:5]
	global_load_dword v47, v[86:87], off offset:432
	global_load_dword v92, v[86:87], off offset:864
	;; [unrolled: 1-line block ×7, first 2 shown]
	s_movk_i32 s4, 0x2000
	global_load_dword v98, v[86:87], off offset:3456
	v_add_co_u32_e32 v88, vcc, s4, v84
	s_movk_i32 s5, 0x3000
	s_nop 0
	v_addc_co_u32_e32 v89, vcc, 0, v85, vcc
	v_add_co_u32_e32 v84, vcc, s5, v84
	v_add_u32_e32 v106, 0x400, v11
	s_nop 0
	v_addc_co_u32_e32 v85, vcc, 0, v85, vcc
	global_load_dword v99, v[88:89], off offset:3472
	global_load_dword v100, v[88:89], off offset:3904
	;; [unrolled: 1-line block ×7, first 2 shown]
	ds_read_b32 v86, v13
	v_add_u32_e32 v107, 0x800, v11
	v_add_u32_e32 v108, 0xa00, v11
	s_waitcnt lgkmcnt(0)
	v_lshrrev_b32_e32 v87, 16, v86
	s_waitcnt vmcnt(15)
	v_mul_f16_sdwa v88, v87, v9 dst_sel:DWORD dst_unused:UNUSED_PAD src0_sel:DWORD src1_sel:WORD_1
	v_mul_f16_sdwa v89, v86, v9 dst_sel:DWORD dst_unused:UNUSED_PAD src0_sel:DWORD src1_sel:WORD_1
	v_fma_f16 v86, v86, v9, -v88
	v_fma_f16 v9, v87, v9, v89
	v_pack_b32_f16 v9, v86, v9
	ds_write_b32 v13, v9
	global_load_dword v9, v[84:85], off offset:1968
	ds_read2_b32 v[86:87], v11 offset0:108 offset1:216
	ds_read2_b32 v[84:85], v106 offset0:68 offset1:176
	;; [unrolled: 1-line block ×4, first 2 shown]
	s_waitcnt lgkmcnt(2)
	v_lshrrev_b32_e32 v113, 16, v84
	v_lshrrev_b32_e32 v109, 16, v86
	s_waitcnt vmcnt(15)
	v_mul_f16_sdwa v110, v86, v47 dst_sel:DWORD dst_unused:UNUSED_PAD src0_sel:DWORD src1_sel:WORD_1
	v_lshrrev_b32_e32 v111, 16, v87
	s_waitcnt vmcnt(14)
	v_mul_f16_sdwa v112, v87, v92 dst_sel:DWORD dst_unused:UNUSED_PAD src0_sel:DWORD src1_sel:WORD_1
	s_waitcnt vmcnt(13)
	v_mul_f16_sdwa v114, v84, v93 dst_sel:DWORD dst_unused:UNUSED_PAD src0_sel:DWORD src1_sel:WORD_1
	v_lshrrev_b32_e32 v115, 16, v85
	s_waitcnt vmcnt(12)
	v_mul_f16_sdwa v116, v85, v94 dst_sel:DWORD dst_unused:UNUSED_PAD src0_sel:DWORD src1_sel:WORD_1
	s_waitcnt lgkmcnt(1)
	v_lshrrev_b32_e32 v117, 16, v88
	s_waitcnt vmcnt(11)
	v_mul_f16_sdwa v118, v88, v95 dst_sel:DWORD dst_unused:UNUSED_PAD src0_sel:DWORD src1_sel:WORD_1
	v_lshrrev_b32_e32 v119, 16, v89
	s_waitcnt vmcnt(10)
	v_mul_f16_sdwa v120, v89, v96 dst_sel:DWORD dst_unused:UNUSED_PAD src0_sel:DWORD src1_sel:WORD_1
	v_mul_f16_sdwa v124, v109, v47 dst_sel:DWORD dst_unused:UNUSED_PAD src0_sel:DWORD src1_sel:WORD_1
	v_fma_f16 v109, v109, v47, v110
	v_mul_f16_sdwa v110, v111, v92 dst_sel:DWORD dst_unused:UNUSED_PAD src0_sel:DWORD src1_sel:WORD_1
	v_fma_f16 v111, v111, v92, v112
	;; [unrolled: 2-line block ×6, first 2 shown]
	v_fma_f16 v47, v86, v47, -v124
	v_fma_f16 v86, v87, v92, -v110
	;; [unrolled: 1-line block ×6, first 2 shown]
	v_pack_b32_f16 v47, v47, v109
	v_pack_b32_f16 v86, v86, v111
	;; [unrolled: 1-line block ×6, first 2 shown]
	ds_write2_b32 v11, v47, v86 offset0:108 offset1:216
	ds_write2_b32 v106, v84, v85 offset0:68 offset1:176
	;; [unrolled: 1-line block ×3, first 2 shown]
	v_add_u32_e32 v88, 0xe00, v11
	ds_read2_b32 v[84:85], v88 offset0:76 offset1:184
	s_waitcnt lgkmcnt(4)
	v_lshrrev_b32_e32 v121, 16, v90
	v_lshrrev_b32_e32 v123, 16, v91
	s_waitcnt vmcnt(9)
	v_mul_f16_sdwa v122, v90, v97 dst_sel:DWORD dst_unused:UNUSED_PAD src0_sel:DWORD src1_sel:WORD_1
	v_mul_f16_sdwa v120, v121, v97 dst_sel:DWORD dst_unused:UNUSED_PAD src0_sel:DWORD src1_sel:WORD_1
	s_waitcnt vmcnt(8)
	v_mul_f16_sdwa v47, v123, v98 dst_sel:DWORD dst_unused:UNUSED_PAD src0_sel:DWORD src1_sel:WORD_1
	v_mul_f16_sdwa v86, v91, v98 dst_sel:DWORD dst_unused:UNUSED_PAD src0_sel:DWORD src1_sel:WORD_1
	v_fma_f16 v121, v121, v97, v122
	v_fma_f16 v89, v90, v97, -v120
	v_fma_f16 v47, v91, v98, -v47
	v_fma_f16 v86, v123, v98, v86
	v_pack_b32_f16 v89, v89, v121
	v_pack_b32_f16 v47, v47, v86
	ds_write2_b32 v108, v89, v47 offset0:116 offset1:224
	s_waitcnt lgkmcnt(1)
	v_lshrrev_b32_e32 v47, 16, v84
	s_waitcnt vmcnt(1)
	v_mul_f16_sdwa v86, v47, v105 dst_sel:DWORD dst_unused:UNUSED_PAD src0_sel:DWORD src1_sel:WORD_1
	v_fma_f16 v86, v84, v105, -v86
	v_mul_f16_sdwa v84, v84, v105 dst_sel:DWORD dst_unused:UNUSED_PAD src0_sel:DWORD src1_sel:WORD_1
	v_fma_f16 v47, v47, v105, v84
	v_lshrrev_b32_e32 v84, 16, v85
	v_pack_b32_f16 v47, v86, v47
	v_mul_f16_sdwa v86, v84, v99 dst_sel:DWORD dst_unused:UNUSED_PAD src0_sel:DWORD src1_sel:WORD_1
	v_add_u32_e32 v90, 0x1200, v11
	v_fma_f16 v89, v85, v99, -v86
	ds_read2_b32 v[86:87], v90 offset0:36 offset1:144
	v_mul_f16_sdwa v85, v85, v99 dst_sel:DWORD dst_unused:UNUSED_PAD src0_sel:DWORD src1_sel:WORD_1
	v_fma_f16 v84, v84, v99, v85
	v_pack_b32_f16 v84, v89, v84
	ds_write2_b32 v88, v47, v84 offset0:76 offset1:184
	s_waitcnt lgkmcnt(1)
	v_lshrrev_b32_e32 v47, 16, v86
	v_mul_f16_sdwa v84, v47, v100 dst_sel:DWORD dst_unused:UNUSED_PAD src0_sel:DWORD src1_sel:WORD_1
	v_mul_f16_sdwa v85, v86, v100 dst_sel:DWORD dst_unused:UNUSED_PAD src0_sel:DWORD src1_sel:WORD_1
	v_fma_f16 v84, v86, v100, -v84
	v_fma_f16 v47, v47, v100, v85
	v_lshrrev_b32_e32 v86, 16, v87
	v_pack_b32_f16 v47, v84, v47
	v_mul_f16_sdwa v84, v86, v101 dst_sel:DWORD dst_unused:UNUSED_PAD src0_sel:DWORD src1_sel:WORD_1
	v_add_u32_e32 v89, 0x1400, v11
	v_fma_f16 v88, v87, v101, -v84
	ds_read2_b32 v[84:85], v89 offset0:124 offset1:232
	v_mul_f16_sdwa v87, v87, v101 dst_sel:DWORD dst_unused:UNUSED_PAD src0_sel:DWORD src1_sel:WORD_1
	v_fma_f16 v86, v86, v101, v87
	v_pack_b32_f16 v86, v88, v86
	ds_write2_b32 v90, v47, v86 offset0:36 offset1:144
	s_waitcnt lgkmcnt(1)
	v_lshrrev_b32_e32 v47, 16, v84
	v_mul_f16_sdwa v86, v47, v102 dst_sel:DWORD dst_unused:UNUSED_PAD src0_sel:DWORD src1_sel:WORD_1
	v_fma_f16 v86, v84, v102, -v86
	v_mul_f16_sdwa v84, v84, v102 dst_sel:DWORD dst_unused:UNUSED_PAD src0_sel:DWORD src1_sel:WORD_1
	v_fma_f16 v47, v47, v102, v84
	v_lshrrev_b32_e32 v84, 16, v85
	v_pack_b32_f16 v47, v86, v47
	v_mul_f16_sdwa v86, v84, v103 dst_sel:DWORD dst_unused:UNUSED_PAD src0_sel:DWORD src1_sel:WORD_1
	v_add_u32_e32 v90, 0x1800, v11
	v_fma_f16 v88, v85, v103, -v86
	ds_read2_b32 v[86:87], v90 offset0:84 offset1:192
	v_mul_f16_sdwa v85, v85, v103 dst_sel:DWORD dst_unused:UNUSED_PAD src0_sel:DWORD src1_sel:WORD_1
	v_fma_f16 v84, v84, v103, v85
	v_pack_b32_f16 v84, v88, v84
	ds_write2_b32 v89, v47, v84 offset0:124 offset1:232
	s_waitcnt lgkmcnt(1)
	v_lshrrev_b32_e32 v47, 16, v86
	v_mul_f16_sdwa v84, v47, v104 dst_sel:DWORD dst_unused:UNUSED_PAD src0_sel:DWORD src1_sel:WORD_1
	v_mul_f16_sdwa v85, v86, v104 dst_sel:DWORD dst_unused:UNUSED_PAD src0_sel:DWORD src1_sel:WORD_1
	v_fma_f16 v84, v86, v104, -v84
	v_fma_f16 v47, v47, v104, v85
	v_pack_b32_f16 v47, v84, v47
	v_lshrrev_b32_e32 v84, 16, v87
	s_waitcnt vmcnt(0)
	v_mul_f16_sdwa v85, v84, v9 dst_sel:DWORD dst_unused:UNUSED_PAD src0_sel:DWORD src1_sel:WORD_1
	v_mul_f16_sdwa v86, v87, v9 dst_sel:DWORD dst_unused:UNUSED_PAD src0_sel:DWORD src1_sel:WORD_1
	v_fma_f16 v85, v87, v9, -v85
	v_fma_f16 v9, v84, v9, v86
	v_pack_b32_f16 v9, v85, v9
	ds_write2_b32 v90, v47, v9 offset0:84 offset1:192
.LBB0_9:
	s_or_b64 exec, exec, s[0:1]
	s_waitcnt lgkmcnt(0)
	s_barrier
	s_and_saveexec_b64 s[0:1], s[2:3]
	s_cbranch_execz .LBB0_11
; %bb.10:
	v_add_u32_e32 v9, 0x200, v13
	ds_read2_b32 v[36:37], v9 offset0:88 offset1:196
	v_add_u32_e32 v9, 0x600, v13
	ds_read2_b32 v[38:39], v9 offset0:48 offset1:156
	;; [unrolled: 2-line block ×6, first 2 shown]
	v_add_u32_e32 v9, 0x1600, v13
	ds_read2_b32 v[34:35], v13 offset1:108
	ds_read2_b32 v[14:15], v9 offset0:104 offset1:212
	ds_read_b32 v51, v13 offset:6912
	s_waitcnt lgkmcnt(8)
	v_lshrrev_b32_e32 v74, 16, v36
	v_lshrrev_b32_e32 v75, 16, v37
	s_waitcnt lgkmcnt(2)
	v_lshrrev_b32_e32 v72, 16, v34
	v_lshrrev_b32_e32 v73, 16, v35
	;; [unrolled: 1-line block ×12, first 2 shown]
	s_waitcnt lgkmcnt(1)
	v_lshrrev_b32_e32 v50, 16, v14
	v_lshrrev_b32_e32 v49, 16, v15
	s_waitcnt lgkmcnt(0)
	v_lshrrev_b32_e32 v48, 16, v51
.LBB0_11:
	s_or_b64 exec, exec, s[0:1]
	s_barrier
	s_and_saveexec_b64 s[0:1], s[2:3]
	s_cbranch_execz .LBB0_13
; %bb.12:
	v_sub_f16_e32 v9, v35, v51
	v_mul_f16_e32 v106, 0xba62, v9
	v_add_f16_e32 v107, v48, v73
	s_mov_b32 s4, 0xb8d2
	v_fma_f16 v47, v107, s4, v106
	v_add_f16_e32 v84, v72, v47
	v_sub_f16_e32 v47, v36, v15
	v_mul_f16_e32 v108, 0x3bb2, v47
	v_add_f16_e32 v109, v49, v74
	s_mov_b32 s5, 0xb461
	v_fma_f16 v85, v109, s5, v108
	v_add_f16_e32 v84, v85, v84
	v_sub_f16_e32 v85, v37, v14
	v_mul_f16_e32 v110, 0xb5c8, v85
	v_add_f16_e32 v111, v50, v75
	s_movk_i32 s16, 0x3b76
	v_fma_f16 v86, v111, s16, v110
	v_add_f16_e32 v84, v86, v84
	v_sub_f16_e32 v86, v38, v17
	v_mul_f16_e32 v112, 0xb836, v86
	v_add_f16_e32 v113, v52, v76
	s_mov_b32 s7, 0xbacd
	v_fma_f16 v87, v113, s7, v112
	v_add_f16_e32 v84, v87, v84
	v_sub_f16_e32 v87, v39, v16
	v_mul_f16_e32 v114, 0x3bf7, v87
	v_add_f16_e32 v115, v53, v77
	s_movk_i32 s18, 0x2de8
	v_fma_f16 v88, v115, s18, v114
	v_add_f16_e32 v84, v88, v84
	v_sub_f16_e32 v88, v40, v45
	v_mul_f16_e32 v116, 0xb964, v88
	v_add_f16_e32 v117, v83, v78
	s_movk_i32 s21, 0x39e9
	v_fma_f16 v89, v117, s21, v116
	v_add_f16_e32 v84, v89, v84
	v_sub_f16_e32 v89, v41, v44
	v_mul_f16_e32 v118, 0xb1e1, v89
	v_add_f16_e32 v119, v82, v79
	s_mov_b32 s20, 0xbbdd
	v_fma_f16 v90, v119, s20, v118
	v_add_f16_e32 v84, v90, v84
	v_sub_f16_e32 v90, v42, v43
	v_mul_f16_e32 v120, 0x3b29, v90
	v_add_f16_e32 v121, v81, v80
	s_movk_i32 s24, 0x3722
	v_fma_f16 v91, v121, s24, v120
	v_sub_f16_e32 v122, v73, v48
	v_add_f16_e32 v84, v91, v84
	v_add_f16_e32 v91, v51, v35
	v_mul_f16_e32 v123, 0xba62, v122
	v_fma_f16 v106, v107, s4, -v106
	v_fma_f16 v92, v91, s4, -v123
	v_sub_f16_e32 v124, v74, v49
	v_add_f16_e32 v106, v72, v106
	v_fma_f16 v108, v109, s5, -v108
	v_add_f16_e32 v93, v34, v92
	v_add_f16_e32 v92, v15, v36
	v_mul_f16_e32 v125, 0x3bb2, v124
	v_add_f16_e32 v106, v108, v106
	v_fma_f16 v108, v111, s16, -v110
	v_fma_f16 v94, v92, s5, -v125
	v_sub_f16_e32 v126, v75, v50
	v_add_f16_e32 v106, v108, v106
	v_fma_f16 v108, v113, s7, -v112
	v_add_f16_e32 v94, v94, v93
	v_add_f16_e32 v93, v14, v37
	v_mul_f16_e32 v127, 0xb5c8, v126
	v_add_f16_e32 v106, v108, v106
	;; [unrolled: 9-line block ×4, first 2 shown]
	v_fma_f16 v108, v91, s4, v123
	v_fma_f16 v97, v96, s18, -v131
	v_sub_f16_e32 v132, v78, v83
	v_add_f16_e32 v108, v34, v108
	v_fma_f16 v110, v92, s5, v125
	v_add_f16_e32 v94, v97, v94
	v_add_f16_e32 v97, v45, v40
	v_mul_f16_e32 v133, 0xb964, v132
	v_add_f16_e32 v108, v110, v108
	v_fma_f16 v110, v93, s16, v127
	v_fma_f16 v98, v97, s21, -v133
	v_sub_f16_e32 v134, v79, v82
	v_add_f16_e32 v108, v110, v108
	v_fma_f16 v110, v95, s7, v129
	v_add_f16_e32 v94, v98, v94
	v_add_f16_e32 v98, v44, v41
	v_mul_f16_e32 v135, 0xb1e1, v134
	v_add_f16_e32 v108, v110, v108
	;; [unrolled: 9-line block ×3, first 2 shown]
	v_fma_f16 v110, v98, s20, v135
	v_add_f16_e32 v108, v110, v108
	v_fma_f16 v110, v99, s24, v137
	s_movk_i32 s23, 0x3bb2
	v_add_f16_e32 v108, v110, v108
	v_mul_f16_e32 v110, 0xb461, v107
	s_mov_b32 s17, 0xb836
	v_fma_f16 v112, v9, s23, v110
	v_mul_f16_e32 v114, 0xbacd, v109
	v_add_f16_e32 v112, v72, v112
	v_fma_f16 v116, v47, s17, v114
	s_mov_b32 s25, 0xb964
	v_add_f16_e32 v112, v116, v112
	v_mul_f16_e32 v116, 0x39e9, v111
	v_fma_f16 v100, v99, s24, -v137
	v_mul_f16_e32 v138, 0xb836, v9
	v_fma_f16 v118, v85, s25, v116
	s_movk_i32 s26, 0x3b29
	v_add_f16_e32 v94, v100, v94
	v_fma_f16 v100, v107, s7, v138
	v_mul_f16_e32 v139, 0x3b29, v47
	v_fma_f16 v138, v107, s7, -v138
	v_add_f16_e32 v112, v118, v112
	v_mul_f16_e32 v118, 0x3722, v113
	v_fma_f16 v101, v109, s24, v139
	v_mul_f16_e32 v140, 0xbbf7, v85
	v_add_f16_e32 v138, v72, v138
	v_fma_f16 v139, v109, s24, -v139
	v_fma_f16 v120, v86, s26, v118
	v_mul_f16_e32 v141, 0x3a62, v86
	v_add_f16_e32 v138, v139, v138
	v_fma_f16 v139, v111, s18, -v140
	v_add_f16_e32 v112, v120, v112
	v_mul_f16_e32 v120, 0xbbdd, v115
	v_mul_f16_e32 v142, 0xb5c8, v87
	v_add_f16_e32 v138, v139, v138
	v_fma_f16 v139, v113, s4, -v141
	v_fma_f16 v123, v87, s36, v120
	v_add_f16_e32 v100, v72, v100
	s_mov_b32 s27, 0xbbf7
	v_mul_f16_e32 v143, 0xb1e1, v88
	v_add_f16_e32 v138, v139, v138
	v_fma_f16 v139, v115, s16, -v142
	v_add_f16_e32 v112, v123, v112
	v_mul_f16_e32 v123, 0x2de8, v117
	v_add_f16_e32 v100, v101, v100
	v_fma_f16 v101, v111, s18, v140
	v_mul_f16_e32 v144, 0x3964, v89
	v_add_f16_e32 v138, v139, v138
	v_fma_f16 v139, v117, s20, -v143
	v_fma_f16 v125, v88, s27, v123
	v_add_f16_e32 v100, v101, v100
	v_fma_f16 v101, v113, s4, v141
	v_mul_f16_e32 v145, 0xbbb2, v90
	s_movk_i32 s30, 0x35c8
	v_add_f16_e32 v138, v139, v138
	v_fma_f16 v139, v119, s21, -v144
	v_add_f16_e32 v112, v125, v112
	v_mul_f16_e32 v125, 0x3b76, v119
	v_add_f16_e32 v100, v101, v100
	v_fma_f16 v101, v115, s16, v142
	v_mul_f16_e32 v146, 0xb836, v122
	v_add_f16_e32 v138, v139, v138
	v_fma_f16 v139, v121, s5, -v145
	v_fma_f16 v127, v89, s30, v125
	s_movk_i32 s33, 0x3a62
	v_add_f16_e32 v100, v101, v100
	v_fma_f16 v101, v117, s20, v143
	v_mul_f16_e32 v147, 0x3b29, v124
	v_add_f16_e32 v138, v139, v138
	v_fma_f16 v139, v91, s7, v146
	v_add_f16_e32 v112, v127, v112
	v_mul_f16_e32 v127, 0xb8d2, v121
	v_add_f16_e32 v100, v101, v100
	v_fma_f16 v101, v119, s21, v144
	v_mul_f16_e32 v148, 0xbbf7, v126
	v_add_f16_e32 v139, v34, v139
	v_fma_f16 v140, v92, s24, v147
	v_fma_f16 v129, v90, s33, v127
	v_add_f16_e32 v100, v101, v100
	v_fma_f16 v101, v121, s5, v145
	v_mul_f16_e32 v149, 0x3a62, v128
	v_add_f16_e32 v139, v140, v139
	v_fma_f16 v140, v93, s18, v148
	v_add_f16_e32 v112, v129, v112
	v_mul_f16_e32 v129, 0xbbb2, v122
	v_add_f16_e32 v100, v101, v100
	v_fma_f16 v101, v91, s7, -v146
	v_mul_f16_e32 v150, 0xb5c8, v130
	v_add_f16_e32 v139, v140, v139
	v_fma_f16 v140, v95, s4, v149
	v_fma_f16 v131, v91, s5, v129
	v_mul_f16_e32 v133, 0x3836, v124
	v_add_f16_e32 v101, v34, v101
	v_fma_f16 v102, v92, s24, -v147
	v_mul_f16_e32 v151, 0xb1e1, v132
	v_add_f16_e32 v139, v140, v139
	v_fma_f16 v140, v96, s16, v150
	v_add_f16_e32 v131, v34, v131
	v_fma_f16 v135, v92, s7, v133
	v_add_f16_e32 v101, v102, v101
	v_fma_f16 v102, v93, s18, -v148
	v_mul_f16_e32 v152, 0x3964, v134
	v_add_f16_e32 v139, v140, v139
	v_fma_f16 v140, v97, s20, v151
	v_add_f16_e32 v131, v135, v131
	v_mul_f16_e32 v135, 0x3964, v126
	v_add_f16_e32 v101, v102, v101
	v_fma_f16 v102, v95, s4, -v149
	v_mul_f16_e32 v153, 0xbbb2, v136
	v_add_f16_e32 v139, v140, v139
	v_fma_f16 v140, v98, s21, v152
	v_fma_f16 v137, v93, s21, v135
	v_add_f16_e32 v101, v102, v101
	v_fma_f16 v102, v96, s16, -v150
	v_add_f16_e32 v139, v140, v139
	v_fma_f16 v140, v99, s5, v153
	v_add_f16_e32 v131, v137, v131
	v_mul_f16_e32 v137, 0xbb29, v128
	v_add_f16_e32 v101, v102, v101
	v_fma_f16 v102, v97, s20, -v151
	v_add_f16_e32 v139, v140, v139
	v_fma_f16 v140, v95, s24, v137
	v_add_f16_e32 v101, v102, v101
	v_fma_f16 v102, v98, s21, -v152
	v_add_f16_e32 v131, v140, v131
	v_mul_f16_e32 v140, 0xb1e1, v130
	v_add_f16_e32 v101, v102, v101
	v_fma_f16 v102, v99, s5, -v153
	v_mul_f16_e32 v104, 0xb1e1, v9
	v_fma_f16 v141, v96, s20, v140
	v_add_f16_e32 v101, v102, v101
	v_fma_f16 v102, v107, s20, v104
	v_mul_f16_e32 v105, 0x35c8, v47
	v_add_f16_e32 v131, v141, v131
	v_mul_f16_e32 v141, 0x3bf7, v132
	v_add_f16_e32 v102, v72, v102
	v_fma_f16 v103, v109, s16, v105
	v_mul_f16_e32 v154, 0xb836, v85
	v_fma_f16 v142, v97, s18, v141
	v_add_f16_e32 v102, v103, v102
	v_fma_f16 v103, v111, s7, v154
	v_mul_f16_e32 v155, 0x3964, v86
	v_add_f16_e32 v131, v142, v131
	v_mul_f16_e32 v142, 0xb5c8, v134
	v_add_f16_e32 v102, v103, v102
	v_fma_f16 v103, v113, s21, v155
	;; [unrolled: 9-line block ×3, first 2 shown]
	v_mul_f16_e32 v158, 0xbbb2, v89
	v_fma_f16 v144, v99, s4, v143
	s_movk_i32 s29, 0x3bf7
	v_add_f16_e32 v102, v103, v102
	v_fma_f16 v103, v119, s5, v158
	v_mul_f16_e32 v159, 0x3bf7, v90
	v_fma_f16 v104, v107, s20, -v104
	v_add_f16_e32 v131, v144, v131
	v_mul_f16_e32 v144, 0x2de8, v107
	v_add_f16_e32 v102, v103, v102
	v_fma_f16 v103, v121, s18, v159
	v_mul_f16_e32 v160, 0xb1e1, v122
	v_add_f16_e32 v104, v72, v104
	v_fma_f16 v105, v109, s16, -v105
	v_fma_f16 v145, v9, s29, v144
	v_mul_f16_e32 v146, 0xbbdd, v109
	v_add_f16_e32 v102, v103, v102
	v_fma_f16 v103, v91, s20, -v160
	v_mul_f16_e32 v161, 0x35c8, v124
	v_add_f16_e32 v104, v105, v104
	v_fma_f16 v105, v111, s7, -v154
	v_add_f16_e32 v145, v72, v145
	v_fma_f16 v147, v47, s36, v146
	v_add_f16_e32 v103, v34, v103
	v_fma_f16 v162, v92, s16, -v161
	v_add_f16_e32 v104, v105, v104
	v_fma_f16 v105, v113, s21, -v155
	v_add_f16_e32 v145, v147, v145
	v_mul_f16_e32 v147, 0xb461, v111
	v_add_f16_e32 v103, v162, v103
	v_mul_f16_e32 v162, 0xb836, v126
	v_add_f16_e32 v104, v105, v104
	v_fma_f16 v105, v115, s4, -v156
	v_fma_f16 v148, v85, s28, v147
	s_mov_b32 s19, 0xb5c8
	v_fma_f16 v163, v93, s7, -v162
	v_add_f16_e32 v104, v105, v104
	v_fma_f16 v105, v117, s24, -v157
	v_add_f16_e32 v145, v148, v145
	v_mul_f16_e32 v148, 0x3b76, v113
	v_add_f16_e32 v103, v163, v103
	v_mul_f16_e32 v163, 0x3964, v128
	v_add_f16_e32 v104, v105, v104
	v_fma_f16 v105, v119, s5, -v158
	v_fma_f16 v149, v86, s19, v148
	v_fma_f16 v164, v95, s21, -v163
	v_add_f16_e32 v104, v105, v104
	v_fma_f16 v105, v121, s18, -v159
	v_add_f16_e32 v145, v149, v145
	v_mul_f16_e32 v149, 0x3722, v115
	v_add_f16_e32 v103, v164, v103
	v_mul_f16_e32 v164, 0xba62, v130
	v_add_f16_e32 v104, v105, v104
	v_fma_f16 v105, v91, s20, v160
	v_fma_f16 v150, v87, s26, v149
	v_fma_f16 v165, v96, s4, -v164
	v_add_f16_e32 v105, v34, v105
	v_fma_f16 v154, v92, s16, v161
	v_add_f16_e32 v145, v150, v145
	v_mul_f16_e32 v150, 0xbacd, v117
	v_add_f16_e32 v103, v165, v103
	v_mul_f16_e32 v165, 0x3b29, v132
	v_add_f16_e32 v105, v154, v105
	v_fma_f16 v154, v93, s7, v162
	v_fma_f16 v151, v88, s35, v150
	s_mov_b32 s6, 0xba62
	v_fma_f16 v166, v97, s24, -v165
	v_add_f16_e32 v105, v154, v105
	v_fma_f16 v154, v95, s21, v163
	v_add_f16_e32 v145, v151, v145
	v_mul_f16_e32 v151, 0xb8d2, v119
	v_add_f16_e32 v103, v166, v103
	v_mul_f16_e32 v166, 0xbbb2, v134
	v_add_f16_e32 v105, v154, v105
	v_fma_f16 v154, v96, s4, v164
	v_fma_f16 v152, v89, s6, v151
	v_fma_f16 v167, v98, s5, -v166
	v_add_f16_e32 v105, v154, v105
	v_fma_f16 v154, v97, s24, v165
	v_add_f16_e32 v145, v152, v145
	v_mul_f16_e32 v152, 0x39e9, v121
	v_add_f16_e32 v103, v167, v103
	v_mul_f16_e32 v167, 0x3bf7, v136
	v_add_f16_e32 v105, v154, v105
	v_fma_f16 v154, v98, s5, v166
	v_fma_f16 v153, v90, s25, v152
	v_add_f16_e32 v35, v35, v34
	v_add_f16_e32 v105, v154, v105
	v_fma_f16 v154, v99, s18, v167
	v_add_f16_e32 v145, v153, v145
	v_mul_f16_e32 v153, 0xbbf7, v122
	v_add_f16_e32 v35, v36, v35
	v_add_f16_e32 v105, v154, v105
	v_fma_f16 v154, v91, s18, v153
	v_mul_f16_e32 v155, 0xb1e1, v124
	v_add_f16_e32 v35, v37, v35
	v_add_f16_e32 v154, v34, v154
	v_fma_f16 v156, v92, s20, v155
	v_add_f16_e32 v35, v38, v35
	v_add_f16_e32 v154, v156, v154
	v_mul_f16_e32 v156, 0x3bb2, v126
	v_add_f16_e32 v35, v39, v35
	v_fma_f16 v157, v93, s5, v156
	v_add_f16_e32 v35, v40, v35
	v_add_f16_e32 v154, v157, v154
	v_mul_f16_e32 v157, 0x35c8, v128
	;; [unrolled: 5-line block ×5, first 2 shown]
	v_add_f16_e32 v16, v17, v16
	v_fma_f16 v161, v98, s4, v160
	v_add_f16_e32 v14, v14, v16
	v_fma_f16 v16, v9, s28, v110
	s_movk_i32 s31, 0x3964
	v_add_f16_e32 v154, v161, v154
	v_mul_f16_e32 v161, 0x3964, v136
	v_add_f16_e32 v16, v72, v16
	v_fma_f16 v17, v47, s35, v114
	v_fma_f16 v162, v99, s21, v161
	v_add_f16_e32 v16, v17, v16
	v_fma_f16 v17, v85, s31, v116
	s_mov_b32 s22, 0xb1e1
	v_add_f16_e32 v154, v162, v154
	v_mul_f16_e32 v162, 0x3722, v107
	v_add_f16_e32 v16, v17, v16
	v_fma_f16 v17, v86, s34, v118
	v_fma_f16 v163, v9, s26, v162
	v_mul_f16_e32 v164, 0xb8d2, v109
	v_add_f16_e32 v16, v17, v16
	v_fma_f16 v17, v87, s22, v120
	v_add_f16_e32 v163, v72, v163
	v_fma_f16 v165, v47, s33, v164
	;; [unrolled: 2-line block ×3, first 2 shown]
	v_add_f16_e32 v163, v165, v163
	v_mul_f16_e32 v165, 0xbbdd, v111
	v_add_f16_e32 v16, v17, v16
	v_fma_f16 v17, v89, s19, v125
	v_fma_f16 v166, v85, s22, v165
	v_add_f16_e32 v16, v17, v16
	v_fma_f16 v17, v90, s6, v127
	v_add_f16_e32 v163, v166, v163
	v_mul_f16_e32 v166, 0xb461, v113
	v_add_f16_e32 v16, v17, v16
	v_fma_f16 v17, v91, s5, -v129
	v_fma_f16 v168, v99, s18, -v167
	v_fma_f16 v167, v86, s28, v166
	v_add_f16_e32 v17, v34, v17
	v_fma_f16 v35, v92, s7, -v133
	v_add_f16_e32 v163, v167, v163
	v_mul_f16_e32 v167, 0x39e9, v115
	v_add_f16_e32 v17, v35, v17
	v_fma_f16 v35, v93, s21, -v135
	v_add_f16_e32 v103, v168, v103
	v_fma_f16 v168, v87, s25, v167
	v_add_f16_e32 v17, v35, v17
	v_fma_f16 v35, v95, s24, -v137
	v_add_f16_e32 v163, v168, v163
	v_mul_f16_e32 v168, 0x3b76, v117
	v_add_f16_e32 v17, v35, v17
	v_fma_f16 v35, v96, s20, -v140
	v_fma_f16 v169, v88, s30, v168
	v_add_f16_e32 v17, v35, v17
	v_fma_f16 v35, v97, s18, -v141
	v_add_f16_e32 v163, v169, v163
	v_mul_f16_e32 v169, 0x2de8, v119
	v_add_f16_e32 v17, v35, v17
	v_fma_f16 v35, v98, s16, -v142
	v_fma_f16 v170, v89, s29, v169
	v_add_f16_e32 v17, v35, v17
	v_fma_f16 v35, v99, s4, -v143
	v_add_f16_e32 v163, v170, v163
	v_mul_f16_e32 v170, 0xbacd, v121
	v_add_f16_e32 v17, v35, v17
	v_fma_f16 v35, v9, s27, v144
	v_fma_f16 v171, v90, s35, v170
	v_add_f16_e32 v35, v72, v35
	v_fma_f16 v36, v47, s22, v146
	v_add_f16_e32 v163, v171, v163
	v_mul_f16_e32 v171, 0xbb29, v122
	v_add_f16_e32 v35, v36, v35
	v_fma_f16 v36, v85, s23, v147
	v_fma_f16 v172, v91, s24, v171
	v_mul_f16_e32 v173, 0xba62, v124
	v_add_f16_e32 v35, v36, v35
	v_fma_f16 v36, v86, s30, v148
	v_add_f16_e32 v172, v34, v172
	v_fma_f16 v174, v92, s4, v173
	;; [unrolled: 2-line block ×3, first 2 shown]
	v_add_f16_e32 v172, v174, v172
	v_mul_f16_e32 v174, 0x31e1, v126
	v_add_f16_e32 v35, v36, v35
	v_fma_f16 v36, v88, s17, v150
	v_fma_f16 v175, v93, s20, v174
	v_add_f16_e32 v35, v36, v35
	v_fma_f16 v36, v89, s33, v151
	v_add_f16_e32 v172, v175, v172
	v_mul_f16_e32 v175, 0x3bb2, v128
	v_add_f16_e32 v35, v36, v35
	v_fma_f16 v36, v90, s31, v152
	v_fma_f16 v176, v95, s5, v175
	v_add_f16_e32 v35, v36, v35
	v_fma_f16 v36, v91, s18, -v153
	v_add_f16_e32 v172, v176, v172
	v_mul_f16_e32 v176, 0x3964, v130
	v_add_f16_e32 v36, v34, v36
	v_fma_f16 v37, v92, s20, -v155
	v_fma_f16 v177, v96, s21, v176
	v_add_f16_e32 v36, v37, v36
	v_fma_f16 v37, v93, s5, -v156
	v_add_f16_e32 v172, v177, v172
	v_mul_f16_e32 v177, 0xb5c8, v132
	v_add_f16_e32 v36, v37, v36
	v_fma_f16 v37, v95, s16, -v157
	;; [unrolled: 7-line block ×4, first 2 shown]
	v_fma_f16 v180, v99, s7, v179
	v_add_f16_e32 v36, v37, v36
	v_fma_f16 v37, v9, s34, v162
	v_add_f16_e32 v172, v180, v172
	v_mul_f16_e32 v180, 0x39e9, v107
	v_add_f16_e32 v37, v72, v37
	v_fma_f16 v38, v47, s6, v164
	v_fma_f16 v181, v9, s31, v180
	v_mul_f16_e32 v182, 0x2de8, v109
	v_add_f16_e32 v37, v38, v37
	v_fma_f16 v38, v85, s36, v165
	v_add_f16_e32 v181, v72, v181
	v_fma_f16 v183, v47, s29, v182
	;; [unrolled: 2-line block ×3, first 2 shown]
	v_add_f16_e32 v181, v183, v181
	v_mul_f16_e32 v183, 0xb8d2, v111
	v_add_f16_e32 v37, v38, v37
	v_fma_f16 v38, v87, s31, v167
	v_fma_f16 v184, v85, s33, v183
	v_add_f16_e32 v37, v38, v37
	v_fma_f16 v38, v88, s19, v168
	v_add_f16_e32 v181, v184, v181
	v_mul_f16_e32 v184, 0xbbdd, v113
	v_add_f16_e32 v37, v38, v37
	v_fma_f16 v38, v89, s27, v169
	v_fma_f16 v185, v86, s36, v184
	v_add_f16_e32 v37, v38, v37
	v_fma_f16 v38, v90, s17, v170
	v_add_f16_e32 v181, v185, v181
	v_mul_f16_e32 v185, 0xbacd, v115
	v_add_f16_e32 v37, v38, v37
	v_fma_f16 v38, v91, s24, -v171
	v_fma_f16 v186, v87, s17, v185
	v_add_f16_e32 v38, v34, v38
	v_fma_f16 v39, v92, s4, -v173
	v_add_f16_e32 v181, v186, v181
	v_mul_f16_e32 v186, 0xb461, v117
	v_add_f16_e32 v38, v39, v38
	v_fma_f16 v39, v93, s20, -v174
	v_fma_f16 v187, v88, s28, v186
	v_add_f16_e32 v38, v39, v38
	v_fma_f16 v39, v95, s5, -v175
	;; [unrolled: 7-line block ×4, first 2 shown]
	v_add_f16_e32 v181, v189, v181
	v_mul_f16_e32 v189, 0xb964, v122
	v_add_f16_e32 v38, v39, v38
	v_fma_f16 v39, v9, s25, v180
	v_fma_f16 v190, v91, s21, v189
	v_mul_f16_e32 v191, 0xbbf7, v124
	v_add_f16_e32 v39, v72, v39
	v_fma_f16 v40, v47, s27, v182
	v_add_f16_e32 v190, v34, v190
	v_fma_f16 v192, v92, s18, v191
	;; [unrolled: 2-line block ×3, first 2 shown]
	v_add_f16_e32 v190, v192, v190
	v_mul_f16_e32 v192, 0xba62, v126
	v_add_f16_e32 v39, v40, v39
	v_fma_f16 v40, v86, s22, v184
	v_fma_f16 v193, v93, s4, v192
	v_add_f16_e32 v39, v40, v39
	v_fma_f16 v40, v87, s35, v185
	v_add_f16_e32 v190, v193, v190
	v_mul_f16_e32 v193, 0xb1e1, v128
	v_add_f16_e32 v39, v40, v39
	v_fma_f16 v40, v88, s23, v186
	v_fma_f16 v194, v95, s20, v193
	v_add_f16_e32 v39, v40, v39
	v_fma_f16 v40, v89, s26, v187
	v_add_f16_e32 v190, v194, v190
	v_mul_f16_e32 v194, 0x3836, v130
	v_add_f16_e32 v39, v40, v39
	v_fma_f16 v40, v90, s30, v188
	v_fma_f16 v195, v96, s7, v194
	v_add_f16_e32 v39, v40, v39
	v_fma_f16 v40, v91, s21, -v189
	v_add_f16_e32 v190, v195, v190
	v_mul_f16_e32 v195, 0x3bb2, v132
	v_add_f16_e32 v40, v34, v40
	v_fma_f16 v41, v92, s18, -v191
	v_fma_f16 v196, v97, s5, v195
	v_add_f16_e32 v40, v41, v40
	v_fma_f16 v41, v93, s4, -v192
	v_add_f16_e32 v190, v196, v190
	v_mul_f16_e32 v196, 0x3b29, v134
	v_add_f16_e32 v40, v41, v40
	v_fma_f16 v41, v95, s20, -v193
	;; [unrolled: 7-line block ×3, first 2 shown]
	v_fma_f16 v198, v99, s16, v197
	v_mul_f16_e32 v107, 0x3b76, v107
	v_add_f16_e32 v40, v41, v40
	v_fma_f16 v41, v98, s24, -v196
	v_add_f16_e32 v190, v198, v190
	v_fma_f16 v198, v9, s30, v107
	v_mul_f16_e32 v109, 0x39e9, v109
	v_add_f16_e32 v40, v41, v40
	v_fma_f16 v41, v99, s16, -v197
	v_fma_f16 v9, v9, s19, v107
	v_add_f16_e32 v198, v72, v198
	v_fma_f16 v199, v47, s31, v109
	v_mul_f16_e32 v111, 0x3722, v111
	v_add_f16_e32 v14, v15, v14
	v_add_f16_e32 v15, v73, v72
	;; [unrolled: 1-line block ×4, first 2 shown]
	v_fma_f16 v41, v47, s25, v109
	v_add_f16_e32 v198, v199, v198
	v_fma_f16 v199, v85, s26, v111
	v_mul_f16_e32 v113, 0x2de8, v113
	v_add_f16_e32 v15, v74, v15
	v_add_f16_e32 v9, v41, v9
	v_fma_f16 v41, v85, s34, v111
	v_add_f16_e32 v198, v199, v198
	v_fma_f16 v199, v86, s29, v113
	v_mul_f16_e32 v115, 0xb461, v115
	v_add_f16_e32 v15, v75, v15
	v_add_f16_e32 v9, v41, v9
	;; [unrolled: 6-line block ×7, first 2 shown]
	v_fma_f16 v41, v91, s16, -v122
	v_add_f16_e32 v199, v34, v199
	v_fma_f16 v200, v92, s21, v124
	v_mul_f16_e32 v126, 0xbb29, v126
	v_add_f16_e32 v15, v81, v15
	v_add_f16_e32 v34, v34, v41
	v_fma_f16 v41, v92, s21, -v124
	v_add_f16_e32 v199, v200, v199
	v_fma_f16 v200, v93, s24, v126
	v_mul_f16_e32 v128, 0xbbf7, v128
	v_add_f16_e32 v15, v82, v15
	v_add_f16_e32 v34, v41, v34
	;; [unrolled: 6-line block ×6, first 2 shown]
	v_fma_f16 v41, v98, s7, -v134
	v_add_f16_e32 v199, v200, v199
	v_fma_f16 v200, v99, s20, v136
	v_add_f16_e32 v15, v49, v15
	v_add_f16_e32 v34, v41, v34
	v_fma_f16 v41, v99, s20, -v136
	v_add_f16_e32 v199, v200, v199
	v_add_f16_e32 v14, v51, v14
	;; [unrolled: 1-line block ×4, first 2 shown]
	v_mul_lo_u16_e32 v41, 17, v10
	v_lshlrev_b32_e32 v41, 2, v41
	v_pack_b32_f16 v42, v199, v198
	v_pack_b32_f16 v14, v14, v15
	ds_write2_b32 v41, v14, v42 offset1:1
	v_pack_b32_f16 v14, v172, v163
	v_pack_b32_f16 v15, v190, v181
	ds_write2_b32 v41, v15, v14 offset0:2 offset1:3
	v_pack_b32_f16 v14, v131, v112
	v_pack_b32_f16 v15, v154, v145
	ds_write2_b32 v41, v15, v14 offset0:4 offset1:5
	;; [unrolled: 3-line block ×6, first 2 shown]
	v_pack_b32_f16 v14, v40, v39
	v_pack_b32_f16 v15, v38, v37
	;; [unrolled: 1-line block ×3, first 2 shown]
	ds_write2_b32 v41, v15, v14 offset0:14 offset1:15
	ds_write_b32 v41, v9 offset:64
.LBB0_13:
	s_or_b64 exec, exec, s[0:1]
	v_add_u32_e32 v9, 0x800, v13
	s_waitcnt lgkmcnt(0)
	s_barrier
	ds_read2_b32 v[36:37], v9 offset0:100 offset1:253
	v_add_u32_e32 v14, 0x1200, v13
	ds_read2_b32 v[38:39], v14 offset0:72 offset1:225
	v_add_u32_e32 v15, 0xe00, v13
	ds_read2_b32 v[42:43], v15 offset0:22 offset1:175
	s_waitcnt lgkmcnt(2)
	v_lshrrev_b32_e32 v48, 16, v36
	v_mul_f16_sdwa v77, v18, v48 dst_sel:DWORD dst_unused:UNUSED_PAD src0_sel:WORD_1 src1_sel:DWORD
	s_waitcnt lgkmcnt(1)
	v_lshrrev_b32_e32 v49, 16, v38
	v_fma_f16 v77, v18, v36, v77
	v_mul_f16_sdwa v36, v18, v36 dst_sel:DWORD dst_unused:UNUSED_PAD src0_sel:WORD_1 src1_sel:DWORD
	v_fma_f16 v18, v18, v48, -v36
	v_mul_f16_sdwa v36, v19, v49 dst_sel:DWORD dst_unused:UNUSED_PAD src0_sel:WORD_1 src1_sel:DWORD
	v_add_u32_e32 v17, 0x1700, v13
	v_lshrrev_b32_e32 v51, 16, v37
	v_fma_f16 v36, v19, v38, v36
	v_mul_f16_sdwa v38, v19, v38 dst_sel:DWORD dst_unused:UNUSED_PAD src0_sel:WORD_1 src1_sel:DWORD
	ds_read2_b32 v[44:45], v17 offset0:58 offset1:211
	v_fma_f16 v19, v19, v49, -v38
	v_mul_f16_sdwa v38, v20, v51 dst_sel:DWORD dst_unused:UNUSED_PAD src0_sel:WORD_1 src1_sel:DWORD
	v_lshrrev_b32_e32 v52, 16, v39
	v_fma_f16 v38, v20, v37, v38
	v_mul_f16_sdwa v37, v20, v37 dst_sel:DWORD dst_unused:UNUSED_PAD src0_sel:WORD_1 src1_sel:DWORD
	v_fma_f16 v20, v20, v51, -v37
	v_mul_f16_sdwa v37, v21, v52 dst_sel:DWORD dst_unused:UNUSED_PAD src0_sel:WORD_1 src1_sel:DWORD
	s_waitcnt lgkmcnt(1)
	v_lshrrev_b32_e32 v72, 16, v42
	v_fma_f16 v37, v21, v39, v37
	v_mul_f16_sdwa v39, v21, v39 dst_sel:DWORD dst_unused:UNUSED_PAD src0_sel:WORD_1 src1_sel:DWORD
	v_fma_f16 v21, v21, v52, -v39
	v_mul_f16_sdwa v39, v24, v72 dst_sel:DWORD dst_unused:UNUSED_PAD src0_sel:WORD_1 src1_sel:DWORD
	s_waitcnt lgkmcnt(0)
	v_lshrrev_b32_e32 v73, 16, v44
	v_fma_f16 v39, v24, v42, v39
	v_mul_f16_sdwa v42, v24, v42 dst_sel:DWORD dst_unused:UNUSED_PAD src0_sel:WORD_1 src1_sel:DWORD
	v_fma_f16 v24, v24, v72, -v42
	v_mul_f16_sdwa v42, v25, v73 dst_sel:DWORD dst_unused:UNUSED_PAD src0_sel:WORD_1 src1_sel:DWORD
	ds_read2_b32 v[34:35], v13 offset1:153
	v_lshrrev_b32_e32 v75, 16, v43
	v_fma_f16 v42, v25, v44, v42
	v_mul_f16_sdwa v44, v25, v44 dst_sel:DWORD dst_unused:UNUSED_PAD src0_sel:WORD_1 src1_sel:DWORD
	v_fma_f16 v25, v25, v73, -v44
	v_mul_f16_sdwa v44, v22, v75 dst_sel:DWORD dst_unused:UNUSED_PAD src0_sel:WORD_1 src1_sel:DWORD
	v_lshrrev_b32_e32 v76, 16, v45
	v_fma_f16 v44, v22, v43, v44
	v_mul_f16_sdwa v43, v22, v43 dst_sel:DWORD dst_unused:UNUSED_PAD src0_sel:WORD_1 src1_sel:DWORD
	v_fma_f16 v22, v22, v75, -v43
	v_mul_f16_sdwa v43, v23, v76 dst_sel:DWORD dst_unused:UNUSED_PAD src0_sel:WORD_1 src1_sel:DWORD
	v_fma_f16 v43, v23, v45, v43
	v_mul_f16_sdwa v45, v23, v45 dst_sel:DWORD dst_unused:UNUSED_PAD src0_sel:WORD_1 src1_sel:DWORD
	v_add_f16_e32 v48, v77, v36
	s_waitcnt lgkmcnt(0)
	v_lshrrev_b32_e32 v47, 16, v34
	v_add_u32_e32 v16, 0x400, v13
	v_fma_f16 v23, v23, v76, -v45
	v_add_f16_e32 v45, v34, v77
	v_fma_f16 v34, v48, -0.5, v34
	v_sub_f16_e32 v48, v18, v19
	s_mov_b32 s1, 0xbaee
	s_movk_i32 s0, 0x3aee
	ds_read2_b32 v[40:41], v16 offset0:50 offset1:203
	v_fma_f16 v49, v48, s1, v34
	v_fma_f16 v34, v48, s0, v34
	v_add_f16_e32 v48, v47, v18
	v_add_f16_e32 v18, v18, v19
	v_add_f16_e32 v48, v48, v19
	v_fma_f16 v18, v18, -0.5, v47
	v_sub_f16_e32 v19, v77, v36
	v_add_f16_e32 v47, v38, v37
	v_lshrrev_b32_e32 v50, 16, v35
	v_add_f16_e32 v45, v45, v36
	v_fma_f16 v36, v19, s0, v18
	v_fma_f16 v18, v19, s1, v18
	v_add_f16_e32 v19, v35, v38
	v_fma_f16 v35, v47, -0.5, v35
	v_sub_f16_e32 v47, v20, v21
	v_fma_f16 v51, v47, s1, v35
	v_fma_f16 v35, v47, s0, v35
	v_add_f16_e32 v47, v50, v20
	v_add_f16_e32 v20, v20, v21
	;; [unrolled: 1-line block ×3, first 2 shown]
	v_fma_f16 v20, v20, -0.5, v50
	v_sub_f16_e32 v21, v38, v37
	v_add_f16_e32 v38, v39, v42
	s_waitcnt lgkmcnt(0)
	v_lshrrev_b32_e32 v53, 16, v40
	v_add_f16_e32 v19, v19, v37
	v_fma_f16 v37, v21, s0, v20
	v_fma_f16 v20, v21, s1, v20
	v_add_f16_e32 v21, v40, v39
	v_fma_f16 v38, v38, -0.5, v40
	v_sub_f16_e32 v40, v24, v25
	v_fma_f16 v50, v40, s1, v38
	v_fma_f16 v38, v40, s0, v38
	v_add_f16_e32 v40, v53, v24
	v_add_f16_e32 v24, v24, v25
	;; [unrolled: 1-line block ×4, first 2 shown]
	v_fma_f16 v24, v24, -0.5, v53
	v_sub_f16_e32 v25, v39, v42
	v_add_f16_e32 v42, v44, v43
	v_lshrrev_b32_e32 v74, 16, v41
	v_fma_f16 v39, v25, s0, v24
	v_fma_f16 v24, v25, s1, v24
	v_add_f16_e32 v25, v41, v44
	v_fma_f16 v41, v42, -0.5, v41
	v_sub_f16_e32 v42, v22, v23
	v_fma_f16 v52, v42, s1, v41
	v_fma_f16 v41, v42, s0, v41
	v_add_f16_e32 v42, v74, v22
	v_add_f16_e32 v22, v22, v23
	;; [unrolled: 1-line block ×3, first 2 shown]
	v_fma_f16 v22, v22, -0.5, v74
	v_sub_f16_e32 v23, v44, v43
	v_pack_b32_f16 v18, v34, v18
	v_add_f16_e32 v25, v25, v43
	v_fma_f16 v43, v23, s0, v22
	v_fma_f16 v22, v23, s1, v22
	s_barrier
	v_pack_b32_f16 v23, v45, v48
	v_pack_b32_f16 v36, v49, v36
	ds_write_b32 v54, v18 offset:136
	v_pack_b32_f16 v18, v19, v47
	v_pack_b32_f16 v19, v51, v37
	ds_write2_b32 v54, v23, v36 offset1:17
	ds_write2_b32 v55, v18, v19 offset1:17
	v_pack_b32_f16 v18, v35, v20
	ds_write_b32 v55, v18 offset:136
	v_pack_b32_f16 v18, v21, v40
	v_pack_b32_f16 v19, v50, v39
	ds_write2_b32 v56, v18, v19 offset1:17
	v_pack_b32_f16 v18, v38, v24
	ds_write_b32 v56, v18 offset:136
	v_pack_b32_f16 v18, v25, v42
	v_pack_b32_f16 v19, v52, v43
	ds_write2_b32 v57, v18, v19 offset1:17
	v_pack_b32_f16 v18, v41, v22
	ds_write_b32 v57, v18 offset:136
	s_waitcnt lgkmcnt(0)
	s_barrier
	ds_read2_b32 v[18:19], v13 offset1:153
	ds_read2_b32 v[20:21], v9 offset0:100 offset1:253
	ds_read2_b32 v[22:23], v14 offset0:72 offset1:225
	;; [unrolled: 1-line block ×5, first 2 shown]
	s_waitcnt lgkmcnt(0)
	v_lshrrev_b32_e32 v38, 16, v18
	v_lshrrev_b32_e32 v39, 16, v20
	v_mul_f16_sdwa v51, v26, v39 dst_sel:DWORD dst_unused:UNUSED_PAD src0_sel:WORD_1 src1_sel:DWORD
	v_lshrrev_b32_e32 v40, 16, v22
	v_fma_f16 v51, v26, v20, v51
	v_mul_f16_sdwa v20, v26, v20 dst_sel:DWORD dst_unused:UNUSED_PAD src0_sel:WORD_1 src1_sel:DWORD
	v_fma_f16 v20, v26, v39, -v20
	v_mul_f16_sdwa v26, v27, v40 dst_sel:DWORD dst_unused:UNUSED_PAD src0_sel:WORD_1 src1_sel:DWORD
	v_lshrrev_b32_e32 v42, 16, v21
	v_fma_f16 v26, v27, v22, v26
	v_mul_f16_sdwa v22, v27, v22 dst_sel:DWORD dst_unused:UNUSED_PAD src0_sel:WORD_1 src1_sel:DWORD
	v_fma_f16 v22, v27, v40, -v22
	;; [unrolled: 5-line block ×7, first 2 shown]
	v_mul_f16_sdwa v35, v33, v50 dst_sel:DWORD dst_unused:UNUSED_PAD src0_sel:WORD_1 src1_sel:DWORD
	v_fma_f16 v35, v33, v37, v35
	v_mul_f16_sdwa v37, v33, v37 dst_sel:DWORD dst_unused:UNUSED_PAD src0_sel:WORD_1 src1_sel:DWORD
	v_add_f16_e32 v39, v51, v26
	v_fma_f16 v33, v33, v50, -v37
	v_add_f16_e32 v37, v18, v51
	v_fma_f16 v18, v39, -0.5, v18
	v_sub_f16_e32 v39, v20, v22
	v_fma_f16 v40, v39, s1, v18
	v_fma_f16 v18, v39, s0, v18
	v_add_f16_e32 v39, v38, v20
	v_add_f16_e32 v20, v20, v22
	;; [unrolled: 1-line block ×3, first 2 shown]
	v_fma_f16 v20, v20, -0.5, v38
	v_sub_f16_e32 v22, v51, v26
	v_add_f16_e32 v38, v27, v28
	v_lshrrev_b32_e32 v41, 16, v19
	v_add_f16_e32 v37, v37, v26
	v_fma_f16 v26, v22, s0, v20
	v_fma_f16 v20, v22, s1, v20
	v_add_f16_e32 v22, v19, v27
	v_fma_f16 v19, v38, -0.5, v19
	v_sub_f16_e32 v38, v21, v23
	v_fma_f16 v42, v38, s1, v19
	v_fma_f16 v19, v38, s0, v19
	v_add_f16_e32 v38, v41, v21
	v_add_f16_e32 v21, v21, v23
	;; [unrolled: 1-line block ×4, first 2 shown]
	v_fma_f16 v21, v21, -0.5, v41
	v_sub_f16_e32 v23, v27, v28
	v_add_f16_e32 v28, v29, v34
	v_lshrrev_b32_e32 v44, 16, v24
	v_fma_f16 v27, v23, s0, v21
	v_fma_f16 v21, v23, s1, v21
	v_add_f16_e32 v23, v24, v29
	v_fma_f16 v24, v28, -0.5, v24
	v_sub_f16_e32 v28, v30, v31
	v_fma_f16 v41, v28, s1, v24
	v_fma_f16 v24, v28, s0, v24
	v_add_f16_e32 v28, v44, v30
	v_add_f16_e32 v30, v30, v31
	;; [unrolled: 1-line block ×3, first 2 shown]
	v_fma_f16 v30, v30, -0.5, v44
	v_sub_f16_e32 v29, v29, v34
	v_add_f16_e32 v34, v36, v35
	v_lshrrev_b32_e32 v48, 16, v25
	v_add_f16_e32 v28, v28, v31
	v_fma_f16 v31, v29, s0, v30
	v_fma_f16 v29, v29, s1, v30
	v_add_f16_e32 v30, v25, v36
	v_fma_f16 v25, v34, -0.5, v25
	v_sub_f16_e32 v34, v32, v33
	v_fma_f16 v43, v34, s1, v25
	v_fma_f16 v25, v34, s0, v25
	v_add_f16_e32 v34, v48, v32
	v_add_f16_e32 v32, v32, v33
	;; [unrolled: 1-line block ×3, first 2 shown]
	v_fma_f16 v32, v32, -0.5, v48
	v_sub_f16_e32 v33, v36, v35
	v_pack_b32_f16 v18, v18, v20
	v_add_f16_e32 v30, v30, v35
	v_fma_f16 v35, v33, s0, v32
	v_fma_f16 v32, v33, s1, v32
	s_barrier
	v_pack_b32_f16 v33, v37, v39
	v_pack_b32_f16 v26, v40, v26
	ds_write_b32 v62, v18 offset:408
	v_pack_b32_f16 v18, v22, v38
	v_pack_b32_f16 v20, v42, v27
	ds_write2_b32 v62, v33, v26 offset1:51
	ds_write2_b32 v63, v18, v20 offset1:51
	v_pack_b32_f16 v18, v19, v21
	ds_write_b32 v63, v18 offset:408
	v_pack_b32_f16 v18, v23, v28
	v_pack_b32_f16 v19, v41, v31
	ds_write2_b32 v64, v18, v19 offset1:51
	v_pack_b32_f16 v18, v24, v29
	ds_write_b32 v64, v18 offset:408
	v_pack_b32_f16 v18, v30, v34
	v_pack_b32_f16 v19, v43, v35
	ds_write2_b32 v65, v18, v19 offset1:51
	v_pack_b32_f16 v18, v25, v32
	ds_write_b32 v65, v18 offset:408
	s_waitcnt lgkmcnt(0)
	s_barrier
	ds_read2_b32 v[18:19], v13 offset1:153
	ds_read2_b32 v[20:21], v15 offset0:22 offset1:175
	ds_read2_b32 v[24:25], v14 offset0:72 offset1:225
	;; [unrolled: 1-line block ×5, first 2 shown]
	s_waitcnt lgkmcnt(5)
	v_lshrrev_b32_e32 v30, 16, v18
	s_waitcnt lgkmcnt(4)
	v_lshrrev_b32_e32 v31, 16, v20
	v_mul_f16_sdwa v42, v61, v31 dst_sel:DWORD dst_unused:UNUSED_PAD src0_sel:WORD_1 src1_sel:DWORD
	v_lshrrev_b32_e32 v33, 16, v21
	v_fma_f16 v42, v61, v20, v42
	v_mul_f16_sdwa v20, v61, v20 dst_sel:DWORD dst_unused:UNUSED_PAD src0_sel:WORD_1 src1_sel:DWORD
	v_fma_f16 v20, v61, v31, -v20
	v_mul_f16_sdwa v31, v61, v33 dst_sel:DWORD dst_unused:UNUSED_PAD src0_sel:WORD_1 src1_sel:DWORD
	s_waitcnt lgkmcnt(3)
	v_lshrrev_b32_e32 v35, 16, v24
	v_fma_f16 v31, v61, v21, v31
	v_mul_f16_sdwa v21, v61, v21 dst_sel:DWORD dst_unused:UNUSED_PAD src0_sel:WORD_1 src1_sel:DWORD
	v_fma_f16 v21, v61, v33, -v21
	v_mul_f16_sdwa v33, v67, v35 dst_sel:DWORD dst_unused:UNUSED_PAD src0_sel:WORD_1 src1_sel:DWORD
	v_lshrrev_b32_e32 v37, 16, v25
	v_fma_f16 v33, v67, v24, v33
	v_mul_f16_sdwa v24, v67, v24 dst_sel:DWORD dst_unused:UNUSED_PAD src0_sel:WORD_1 src1_sel:DWORD
	v_fma_f16 v24, v67, v35, -v24
	v_mul_f16_sdwa v35, v68, v37 dst_sel:DWORD dst_unused:UNUSED_PAD src0_sel:WORD_1 src1_sel:DWORD
	s_waitcnt lgkmcnt(0)
	v_lshrrev_b32_e32 v39, 16, v28
	v_fma_f16 v35, v68, v25, v35
	v_mul_f16_sdwa v25, v68, v25 dst_sel:DWORD dst_unused:UNUSED_PAD src0_sel:WORD_1 src1_sel:DWORD
	v_fma_f16 v25, v68, v37, -v25
	v_mul_f16_sdwa v37, v66, v39 dst_sel:DWORD dst_unused:UNUSED_PAD src0_sel:WORD_1 src1_sel:DWORD
	v_lshrrev_b32_e32 v41, 16, v29
	v_fma_f16 v37, v66, v28, v37
	v_mul_f16_sdwa v28, v66, v28 dst_sel:DWORD dst_unused:UNUSED_PAD src0_sel:WORD_1 src1_sel:DWORD
	v_fma_f16 v28, v66, v39, -v28
	v_mul_f16_sdwa v39, v69, v41 dst_sel:DWORD dst_unused:UNUSED_PAD src0_sel:WORD_1 src1_sel:DWORD
	v_fma_f16 v39, v69, v29, v39
	v_mul_f16_sdwa v29, v69, v29 dst_sel:DWORD dst_unused:UNUSED_PAD src0_sel:WORD_1 src1_sel:DWORD
	v_lshrrev_b32_e32 v32, 16, v19
	v_fma_f16 v29, v69, v41, -v29
	v_sub_f16_e32 v41, v18, v42
	v_sub_f16_e32 v20, v30, v20
	v_lshrrev_b32_e32 v34, 16, v22
	v_fma_f16 v18, v18, 2.0, -v41
	v_fma_f16 v30, v30, 2.0, -v20
	v_sub_f16_e32 v31, v19, v31
	v_sub_f16_e32 v21, v32, v21
	v_lshrrev_b32_e32 v36, 16, v23
	v_fma_f16 v19, v19, 2.0, -v31
	v_fma_f16 v32, v32, 2.0, -v21
	v_sub_f16_e32 v33, v22, v33
	v_sub_f16_e32 v24, v34, v24
	v_pack_b32_f16 v18, v18, v30
	v_pack_b32_f16 v20, v41, v20
	v_lshrrev_b32_e32 v38, 16, v26
	v_fma_f16 v22, v22, 2.0, -v33
	v_fma_f16 v34, v34, 2.0, -v24
	v_sub_f16_e32 v35, v23, v35
	v_sub_f16_e32 v25, v36, v25
	s_barrier
	ds_write2_b32 v13, v18, v20 offset1:153
	v_pack_b32_f16 v18, v19, v32
	v_pack_b32_f16 v19, v31, v21
	v_lshrrev_b32_e32 v40, 16, v27
	v_fma_f16 v23, v23, 2.0, -v35
	v_fma_f16 v36, v36, 2.0, -v25
	v_sub_f16_e32 v37, v26, v37
	v_sub_f16_e32 v28, v38, v28
	ds_write2_b32 v16, v18, v19 offset0:50 offset1:203
	v_pack_b32_f16 v18, v22, v34
	v_pack_b32_f16 v19, v33, v24
	v_add_u32_e32 v20, 0x800, v46
	v_fma_f16 v26, v26, 2.0, -v37
	v_fma_f16 v38, v38, 2.0, -v28
	v_sub_f16_e32 v39, v27, v39
	v_sub_f16_e32 v29, v40, v29
	ds_write2_b32 v20, v18, v19 offset0:100 offset1:253
	v_pack_b32_f16 v18, v23, v36
	v_pack_b32_f16 v19, v35, v25
	v_add_u32_e32 v20, 0xe00, v58
	v_fma_f16 v27, v27, 2.0, -v39
	v_fma_f16 v40, v40, 2.0, -v29
	ds_write2_b32 v20, v18, v19 offset0:22 offset1:175
	v_pack_b32_f16 v18, v26, v38
	v_pack_b32_f16 v19, v37, v28
	v_add_u32_e32 v20, 0x1200, v59
	ds_write2_b32 v20, v18, v19 offset0:72 offset1:225
	v_pack_b32_f16 v18, v27, v40
	v_pack_b32_f16 v19, v39, v29
	v_add_u32_e32 v20, 0x1700, v60
	ds_write2_b32 v20, v18, v19 offset0:58 offset1:211
	s_waitcnt lgkmcnt(0)
	s_barrier
	ds_read2_b32 v[18:19], v13 offset1:153
	ds_read2_b32 v[20:21], v16 offset0:50 offset1:203
	ds_read2_b32 v[22:23], v9 offset0:100 offset1:253
	;; [unrolled: 1-line block ×5, first 2 shown]
	s_waitcnt lgkmcnt(4)
	v_lshrrev_b32_e32 v31, 16, v20
	v_mul_f16_sdwa v42, v0, v31 dst_sel:DWORD dst_unused:UNUSED_PAD src0_sel:WORD_1 src1_sel:DWORD
	s_waitcnt lgkmcnt(3)
	v_lshrrev_b32_e32 v32, 16, v22
	v_fma_f16 v42, v0, v20, v42
	v_mul_f16_sdwa v20, v0, v20 dst_sel:DWORD dst_unused:UNUSED_PAD src0_sel:WORD_1 src1_sel:DWORD
	v_fma_f16 v0, v0, v31, -v20
	v_mul_f16_sdwa v20, v1, v32 dst_sel:DWORD dst_unused:UNUSED_PAD src0_sel:WORD_1 src1_sel:DWORD
	s_waitcnt lgkmcnt(2)
	v_lshrrev_b32_e32 v33, 16, v24
	v_fma_f16 v20, v1, v22, v20
	v_mul_f16_sdwa v22, v1, v22 dst_sel:DWORD dst_unused:UNUSED_PAD src0_sel:WORD_1 src1_sel:DWORD
	v_fma_f16 v1, v1, v32, -v22
	;; [unrolled: 6-line block ×3, first 2 shown]
	v_mul_f16_sdwa v24, v3, v34 dst_sel:DWORD dst_unused:UNUSED_PAD src0_sel:WORD_1 src1_sel:DWORD
	v_fma_f16 v24, v3, v26, v24
	v_mul_f16_sdwa v26, v3, v26 dst_sel:DWORD dst_unused:UNUSED_PAD src0_sel:WORD_1 src1_sel:DWORD
	s_waitcnt lgkmcnt(0)
	v_lshrrev_b32_e32 v35, 16, v28
	v_fma_f16 v3, v3, v34, -v26
	v_add_f16_e32 v33, v20, v24
	v_lshrrev_b32_e32 v30, 16, v18
	v_lshrrev_b32_e32 v37, 16, v21
	v_mul_f16_sdwa v26, v70, v35 dst_sel:DWORD dst_unused:UNUSED_PAD src0_sel:WORD_1 src1_sel:DWORD
	v_add_f16_e32 v32, v18, v20
	v_fma_f16 v18, v33, -0.5, v18
	v_sub_f16_e32 v33, v1, v3
	v_fma_f16 v26, v70, v28, v26
	v_mul_f16_sdwa v28, v70, v28 dst_sel:DWORD dst_unused:UNUSED_PAD src0_sel:WORD_1 src1_sel:DWORD
	v_mul_f16_sdwa v31, v4, v37 dst_sel:DWORD dst_unused:UNUSED_PAD src0_sel:WORD_1 src1_sel:DWORD
	v_fma_f16 v34, v33, s1, v18
	v_fma_f16 v18, v33, s0, v18
	v_add_f16_e32 v33, v30, v1
	v_lshrrev_b32_e32 v38, 16, v23
	v_fma_f16 v28, v70, v35, -v28
	v_fma_f16 v31, v4, v21, v31
	v_mul_f16_sdwa v21, v4, v21 dst_sel:DWORD dst_unused:UNUSED_PAD src0_sel:WORD_1 src1_sel:DWORD
	v_add_f16_e32 v32, v32, v24
	v_add_f16_e32 v33, v33, v3
	v_add_f16_e32 v1, v1, v3
	v_sub_f16_e32 v3, v20, v24
	v_add_f16_e32 v24, v22, v26
	v_fma_f16 v4, v4, v37, -v21
	v_mul_f16_sdwa v21, v5, v38 dst_sel:DWORD dst_unused:UNUSED_PAD src0_sel:WORD_1 src1_sel:DWORD
	v_fma_f16 v1, v1, -0.5, v30
	v_fma_f16 v24, v24, -0.5, v42
	v_sub_f16_e32 v30, v2, v28
	v_lshrrev_b32_e32 v39, 16, v25
	v_fma_f16 v21, v5, v23, v21
	v_mul_f16_sdwa v23, v5, v23 dst_sel:DWORD dst_unused:UNUSED_PAD src0_sel:WORD_1 src1_sel:DWORD
	v_fma_f16 v35, v30, s1, v24
	v_fma_f16 v24, v30, s0, v24
	v_add_f16_e32 v30, v0, v2
	v_add_f16_e32 v2, v2, v28
	v_fma_f16 v5, v5, v38, -v23
	v_mul_f16_sdwa v23, v6, v39 dst_sel:DWORD dst_unused:UNUSED_PAD src0_sel:WORD_1 src1_sel:DWORD
	v_fma_f16 v0, v2, -0.5, v0
	v_sub_f16_e32 v2, v22, v26
	v_lshrrev_b32_e32 v40, 16, v27
	v_fma_f16 v23, v6, v25, v23
	v_mul_f16_sdwa v25, v6, v25 dst_sel:DWORD dst_unused:UNUSED_PAD src0_sel:WORD_1 src1_sel:DWORD
	v_fma_f16 v20, v3, s0, v1
	v_fma_f16 v1, v3, s1, v1
	v_add_f16_e32 v3, v42, v22
	v_fma_f16 v22, v2, s0, v0
	v_fma_f16 v6, v6, v39, -v25
	v_mul_f16_sdwa v25, v7, v40 dst_sel:DWORD dst_unused:UNUSED_PAD src0_sel:WORD_1 src1_sel:DWORD
	v_add_f16_e32 v3, v3, v26
	v_fma_f16 v0, v2, s1, v0
	v_mul_f16_e32 v26, 0xbaee, v22
	v_mul_f16_e32 v22, 0.5, v22
	v_fma_f16 v25, v7, v27, v25
	v_mul_f16_sdwa v27, v7, v27 dst_sel:DWORD dst_unused:UNUSED_PAD src0_sel:WORD_1 src1_sel:DWORD
	v_mul_f16_e32 v37, 0xbaee, v0
	v_fma_f16 v22, v35, s0, v22
	v_mul_f16_e32 v0, -0.5, v0
	v_lshrrev_b32_e32 v41, 16, v29
	v_fma_f16 v7, v7, v40, -v27
	v_fma_f16 v26, v35, 0.5, v26
	v_add_f16_e32 v35, v20, v22
	v_fma_f16 v0, v24, s0, v0
	v_sub_f16_e32 v20, v20, v22
	v_add_f16_e32 v22, v21, v25
	v_lshrrev_b32_e32 v36, 16, v19
	v_mul_f16_sdwa v27, v71, v41 dst_sel:DWORD dst_unused:UNUSED_PAD src0_sel:WORD_1 src1_sel:DWORD
	v_fma_f16 v37, v24, -0.5, v37
	v_add_f16_e32 v24, v1, v0
	v_sub_f16_e32 v0, v1, v0
	v_add_f16_e32 v1, v19, v21
	v_fma_f16 v19, v22, -0.5, v19
	v_sub_f16_e32 v22, v5, v7
	v_fma_f16 v27, v71, v29, v27
	v_mul_f16_sdwa v29, v71, v29 dst_sel:DWORD dst_unused:UNUSED_PAD src0_sel:WORD_1 src1_sel:DWORD
	v_add_f16_e32 v2, v32, v3
	v_sub_f16_e32 v3, v32, v3
	v_fma_f16 v32, v22, s1, v19
	v_fma_f16 v19, v22, s0, v19
	v_add_f16_e32 v22, v36, v5
	v_add_f16_e32 v5, v5, v7
	v_fma_f16 v29, v71, v41, -v29
	v_add_f16_e32 v1, v1, v25
	v_add_f16_e32 v22, v22, v7
	v_fma_f16 v5, v5, -0.5, v36
	v_sub_f16_e32 v7, v21, v25
	v_add_f16_e32 v25, v23, v27
	v_add_f16_e32 v30, v30, v28
	v_fma_f16 v21, v7, s0, v5
	v_fma_f16 v5, v7, s1, v5
	v_add_f16_e32 v7, v31, v23
	v_fma_f16 v25, v25, -0.5, v31
	v_sub_f16_e32 v31, v6, v29
	v_add_f16_e32 v39, v33, v30
	v_sub_f16_e32 v30, v33, v30
	v_fma_f16 v33, v31, s1, v25
	v_fma_f16 v25, v31, s0, v25
	v_add_f16_e32 v31, v4, v6
	v_add_f16_e32 v6, v6, v29
	v_fma_f16 v4, v6, -0.5, v4
	v_sub_f16_e32 v6, v23, v27
	v_fma_f16 v23, v6, s0, v4
	v_add_f16_e32 v7, v7, v27
	v_add_f16_e32 v31, v31, v29
	v_fma_f16 v4, v6, s1, v4
	v_mul_f16_e32 v27, 0xbaee, v23
	v_mul_f16_e32 v23, 0.5, v23
	v_add_f16_e32 v28, v34, v26
	v_add_f16_e32 v38, v18, v37
	v_sub_f16_e32 v26, v34, v26
	v_sub_f16_e32 v18, v18, v37
	v_add_f16_e32 v6, v1, v7
	v_fma_f16 v27, v33, 0.5, v27
	v_mul_f16_e32 v34, 0xbaee, v4
	v_add_f16_e32 v37, v22, v31
	v_fma_f16 v23, v33, s0, v23
	v_mul_f16_e32 v4, -0.5, v4
	v_sub_f16_e32 v1, v1, v7
	v_sub_f16_e32 v22, v22, v31
	v_add_f16_e32 v29, v32, v27
	v_fma_f16 v34, v25, -0.5, v34
	v_add_f16_e32 v33, v21, v23
	v_fma_f16 v4, v25, s0, v4
	v_sub_f16_e32 v7, v32, v27
	v_sub_f16_e32 v21, v21, v23
	v_pack_b32_f16 v2, v2, v39
	v_pack_b32_f16 v3, v3, v30
	;; [unrolled: 1-line block ×4, first 2 shown]
	v_add_f16_e32 v36, v19, v34
	v_add_f16_e32 v25, v5, v4
	v_sub_f16_e32 v19, v19, v34
	v_sub_f16_e32 v4, v5, v4
	v_pack_b32_f16 v5, v28, v35
	v_pack_b32_f16 v20, v26, v20
	ds_write2_b32 v13, v2, v6 offset1:153
	v_pack_b32_f16 v2, v29, v33
	ds_write2_b32 v15, v3, v1 offset0:22 offset1:175
	v_pack_b32_f16 v1, v7, v21
	v_pack_b32_f16 v23, v38, v24
	;; [unrolled: 1-line block ×3, first 2 shown]
	ds_write2_b32 v16, v5, v2 offset0:50 offset1:203
	v_pack_b32_f16 v2, v36, v25
	ds_write2_b32 v14, v20, v1 offset0:72 offset1:225
	v_pack_b32_f16 v1, v19, v4
	ds_write2_b32 v9, v23, v2 offset0:100 offset1:253
	ds_write2_b32 v17, v0, v1 offset0:58 offset1:211
	s_waitcnt lgkmcnt(0)
	s_barrier
	s_and_b64 exec, exec, s[2:3]
	s_cbranch_execz .LBB0_15
; %bb.14:
	global_load_dword v3, v8, s[12:13]
	ds_read_b32 v9, v13
	v_mad_u64_u32 v[4:5], s[0:1], s10, v12, 0
	v_mad_u64_u32 v[6:7], s[0:1], s8, v10, 0
	v_mov_b32_e32 v14, v5
	s_waitcnt lgkmcnt(0)
	v_lshrrev_b32_e32 v5, 16, v9
	v_mov_b32_e32 v16, v7
	v_mad_u64_u32 v[12:13], s[0:1], s11, v12, v[14:15]
	v_mad_u64_u32 v[14:15], s[0:1], s9, v10, v[16:17]
	s_mov_b32 s6, 0x672e4abd
	s_mov_b32 s7, 0x3f41d8f5
	s_movk_i32 s16, 0x1ff
	v_mov_b32_e32 v0, s14
	s_mov_b32 s14, 0x8000
	v_mov_b32_e32 v1, s15
	s_movk_i32 s15, 0xffe
	v_mov_b32_e32 v2, 0x7c00
	s_movk_i32 s10, 0x40f
	s_mov_b32 s17, 0xffff
	s_mulk_i32 s9, 0x1b0
	s_waitcnt vmcnt(0)
	v_mul_f16_sdwa v7, v5, v3 dst_sel:DWORD dst_unused:UNUSED_PAD src0_sel:DWORD src1_sel:WORD_1
	v_mul_f16_sdwa v10, v9, v3 dst_sel:DWORD dst_unused:UNUSED_PAD src0_sel:DWORD src1_sel:WORD_1
	v_fma_f16 v7, v9, v3, v7
	v_fma_f16 v3, v3, v5, -v10
	v_cvt_f32_f16_e32 v9, v7
	v_cvt_f32_f16_e32 v3, v3
	v_mov_b32_e32 v5, v12
	v_mov_b32_e32 v7, v14
	v_cvt_f64_f32_e32 v[12:13], v9
	v_cvt_f64_f32_e32 v[14:15], v3
	v_mul_f64 v[12:13], v[12:13], s[6:7]
	v_mul_f64 v[14:15], v[14:15], s[6:7]
	v_and_or_b32 v3, v13, s16, v12
	v_lshrrev_b32_e32 v9, 8, v13
	v_bfe_u32 v10, v13, 20, 11
	v_and_b32_sdwa v12, v13, s14 dst_sel:DWORD dst_unused:UNUSED_PAD src0_sel:WORD_1 src1_sel:DWORD
	v_and_or_b32 v13, v15, s16, v14
	v_cmp_ne_u32_e32 vcc, 0, v3
	v_lshrrev_b32_e32 v14, 8, v15
	v_bfe_u32 v16, v15, 20, 11
	v_cndmask_b32_e64 v3, 0, 1, vcc
	v_cmp_ne_u32_e32 vcc, 0, v13
	v_sub_u32_e32 v17, 0x3f1, v10
	v_and_or_b32 v3, v9, s15, v3
	v_cndmask_b32_e64 v13, 0, 1, vcc
	v_sub_u32_e32 v18, 0x3f1, v16
	v_med3_i32 v9, v17, 0, 13
	v_and_or_b32 v13, v14, s15, v13
	v_or_b32_e32 v17, 0x1000, v3
	v_add_u32_e32 v10, 0xfffffc10, v10
	v_med3_i32 v14, v18, 0, 13
	v_cmp_ne_u32_e32 vcc, 0, v3
	v_or_b32_e32 v19, 0x1000, v13
	v_lshrrev_b32_e32 v21, v9, v17
	v_add_u32_e32 v16, 0xfffffc10, v16
	v_lshl_or_b32 v18, v10, 12, v3
	v_cndmask_b32_e64 v3, 0, 1, vcc
	v_cmp_ne_u32_e32 vcc, 0, v13
	v_lshrrev_b32_e32 v22, v14, v19
	v_lshlrev_b32_e32 v9, v9, v21
	v_lshl_or_b32 v20, v16, 12, v13
	v_cndmask_b32_e64 v13, 0, 1, vcc
	v_lshlrev_b32_e32 v14, v14, v22
	v_cmp_ne_u32_e32 vcc, v9, v17
	v_lshl_or_b32 v3, v3, 9, v2
	v_lshl_or_b32 v13, v13, 9, v2
	v_cndmask_b32_e64 v9, 0, 1, vcc
	v_cmp_ne_u32_e32 vcc, v14, v19
	v_or_b32_e32 v9, v21, v9
	v_lshrrev_b32_e32 v15, 16, v15
	v_cndmask_b32_e64 v14, 0, 1, vcc
	v_cmp_gt_i32_e32 vcc, 1, v10
	v_or_b32_e32 v14, v22, v14
	v_lshl_add_u64 v[0:1], v[4:5], 2, v[0:1]
	v_cndmask_b32_e32 v9, v18, v9, vcc
	v_cmp_gt_i32_e32 vcc, 1, v16
	v_and_b32_e32 v17, 7, v9
	v_cmp_eq_u32_e64 s[0:1], 3, v17
	v_cndmask_b32_e32 v14, v20, v14, vcc
	v_cmp_lt_i32_e32 vcc, 5, v17
	v_lshrrev_b32_e32 v9, 2, v9
	v_and_b32_e32 v18, 7, v14
	s_or_b64 vcc, s[0:1], vcc
	v_cmp_lt_i32_e64 s[2:3], 5, v18
	v_cmp_eq_u32_e64 s[4:5], 3, v18
	v_addc_co_u32_e32 v9, vcc, 0, v9, vcc
	v_lshrrev_b32_e32 v14, 2, v14
	s_or_b64 vcc, s[4:5], s[2:3]
	v_addc_co_u32_e32 v14, vcc, 0, v14, vcc
	v_cmp_gt_i32_e32 vcc, 31, v10
	v_lshl_add_u64 v[0:1], v[6:7], 2, v[0:1]
	ds_read2_b32 v[4:5], v11 offset0:108 offset1:216
	v_cndmask_b32_e32 v9, v2, v9, vcc
	v_cmp_gt_i32_e32 vcc, 31, v16
	s_waitcnt lgkmcnt(0)
	v_lshrrev_b32_e32 v7, 16, v4
	v_cndmask_b32_e32 v14, v2, v14, vcc
	v_cmp_eq_u32_e32 vcc, s10, v10
	s_nop 1
	v_cndmask_b32_e32 v3, v9, v3, vcc
	v_cmp_eq_u32_e32 vcc, s10, v16
	v_bitop3_b32 v3, v12, s17, v3 bitop3:0xc8
	s_nop 0
	v_cndmask_b32_e32 v9, v14, v13, vcc
	v_and_or_b32 v9, v15, s14, v9
	v_lshl_or_b32 v3, v9, 16, v3
	global_store_dword v[0:1], v3, off
	global_load_dword v6, v8, s[12:13] offset:432
	v_mov_b32_e32 v3, 0x1b0
	v_mad_u64_u32 v[0:1], s[0:1], s8, v3, v[0:1]
	v_add_u32_e32 v1, s9, v1
	s_waitcnt vmcnt(0)
	v_mul_f16_sdwa v9, v7, v6 dst_sel:DWORD dst_unused:UNUSED_PAD src0_sel:DWORD src1_sel:WORD_1
	v_mul_f16_sdwa v10, v4, v6 dst_sel:DWORD dst_unused:UNUSED_PAD src0_sel:DWORD src1_sel:WORD_1
	v_fma_f16 v4, v4, v6, v9
	v_fma_f16 v6, v6, v7, -v10
	v_cvt_f32_f16_e32 v4, v4
	v_cvt_f32_f16_e32 v9, v6
	v_cvt_f64_f32_e32 v[6:7], v4
	v_cvt_f64_f32_e32 v[12:13], v9
	v_mul_f64 v[6:7], v[6:7], s[6:7]
	v_mul_f64 v[12:13], v[12:13], s[6:7]
	v_and_or_b32 v4, v7, s16, v6
	v_and_or_b32 v10, v13, s16, v12
	v_cmp_ne_u32_e32 vcc, 0, v4
	v_lshrrev_b32_e32 v6, 8, v7
	v_bfe_u32 v9, v7, 20, 11
	v_cndmask_b32_e64 v4, 0, 1, vcc
	v_cmp_ne_u32_e32 vcc, 0, v10
	v_lshrrev_b32_e32 v12, 8, v13
	v_bfe_u32 v14, v13, 20, 11
	v_sub_u32_e32 v15, 0x3f1, v9
	v_cndmask_b32_e64 v10, 0, 1, vcc
	v_and_or_b32 v4, v6, s15, v4
	v_sub_u32_e32 v16, 0x3f1, v14
	v_med3_i32 v6, v15, 0, 13
	v_and_or_b32 v10, v12, s15, v10
	v_or_b32_e32 v15, 0x1000, v4
	v_add_u32_e32 v9, 0xfffffc10, v9
	v_med3_i32 v12, v16, 0, 13
	v_cmp_ne_u32_e32 vcc, 0, v4
	v_or_b32_e32 v17, 0x1000, v10
	v_lshrrev_b32_e32 v19, v6, v15
	v_add_u32_e32 v14, 0xfffffc10, v14
	v_lshl_or_b32 v16, v9, 12, v4
	v_cndmask_b32_e64 v4, 0, 1, vcc
	v_cmp_ne_u32_e32 vcc, 0, v10
	v_lshrrev_b32_e32 v20, v12, v17
	v_lshlrev_b32_e32 v6, v6, v19
	v_lshl_or_b32 v18, v14, 12, v10
	v_cndmask_b32_e64 v10, 0, 1, vcc
	v_lshlrev_b32_e32 v12, v12, v20
	v_cmp_ne_u32_e32 vcc, v6, v15
	v_lshl_or_b32 v4, v4, 9, v2
	v_lshl_or_b32 v10, v10, 9, v2
	v_cndmask_b32_e64 v6, 0, 1, vcc
	v_cmp_ne_u32_e32 vcc, v12, v17
	v_or_b32_e32 v6, v19, v6
	v_and_b32_sdwa v7, v7, s14 dst_sel:DWORD dst_unused:UNUSED_PAD src0_sel:WORD_1 src1_sel:DWORD
	v_cndmask_b32_e64 v12, 0, 1, vcc
	v_cmp_gt_i32_e32 vcc, 1, v9
	v_or_b32_e32 v12, v20, v12
	v_lshrrev_b32_e32 v13, 16, v13
	v_cndmask_b32_e32 v6, v16, v6, vcc
	v_cmp_gt_i32_e32 vcc, 1, v14
	v_and_b32_e32 v15, 7, v6
	v_cmp_eq_u32_e64 s[0:1], 3, v15
	v_cndmask_b32_e32 v12, v18, v12, vcc
	v_cmp_lt_i32_e32 vcc, 5, v15
	v_lshrrev_b32_e32 v6, 2, v6
	v_and_b32_e32 v16, 7, v12
	s_or_b64 vcc, s[0:1], vcc
	v_cmp_lt_i32_e64 s[2:3], 5, v16
	v_cmp_eq_u32_e64 s[4:5], 3, v16
	v_addc_co_u32_e32 v6, vcc, 0, v6, vcc
	v_lshrrev_b32_e32 v12, 2, v12
	s_or_b64 vcc, s[4:5], s[2:3]
	v_addc_co_u32_e32 v12, vcc, 0, v12, vcc
	v_cmp_gt_i32_e32 vcc, 31, v9
	s_nop 1
	v_cndmask_b32_e32 v6, v2, v6, vcc
	v_cmp_gt_i32_e32 vcc, 31, v14
	s_nop 1
	v_cndmask_b32_e32 v12, v2, v12, vcc
	v_cmp_eq_u32_e32 vcc, s10, v9
	s_nop 1
	v_cndmask_b32_e32 v4, v6, v4, vcc
	v_cmp_eq_u32_e32 vcc, s10, v14
	v_bitop3_b32 v4, v7, s17, v4 bitop3:0xc8
	s_nop 0
	v_cndmask_b32_e32 v6, v12, v10, vcc
	v_and_or_b32 v6, v13, s14, v6
	v_lshl_or_b32 v4, v6, 16, v4
	global_store_dword v[0:1], v4, off
	global_load_dword v4, v8, s[12:13] offset:864
	v_lshrrev_b32_e32 v6, 16, v5
	v_mad_u64_u32 v[0:1], s[0:1], s8, v3, v[0:1]
	v_add_u32_e32 v1, s9, v1
	s_waitcnt vmcnt(0)
	v_mul_f16_sdwa v7, v6, v4 dst_sel:DWORD dst_unused:UNUSED_PAD src0_sel:DWORD src1_sel:WORD_1
	v_mul_f16_sdwa v9, v5, v4 dst_sel:DWORD dst_unused:UNUSED_PAD src0_sel:DWORD src1_sel:WORD_1
	v_fma_f16 v5, v5, v4, v7
	v_fma_f16 v4, v4, v6, -v9
	v_cvt_f32_f16_e32 v5, v5
	v_cvt_f32_f16_e32 v6, v4
	v_cvt_f64_f32_e32 v[4:5], v5
	v_cvt_f64_f32_e32 v[6:7], v6
	v_mul_f64 v[4:5], v[4:5], s[6:7]
	v_mul_f64 v[6:7], v[6:7], s[6:7]
	v_and_or_b32 v4, v5, s16, v4
	v_and_or_b32 v6, v7, s16, v6
	v_cmp_ne_u32_e32 vcc, 0, v4
	v_lshrrev_b32_e32 v9, 8, v5
	v_bfe_u32 v10, v5, 20, 11
	v_cndmask_b32_e64 v4, 0, 1, vcc
	v_cmp_ne_u32_e32 vcc, 0, v6
	v_lshrrev_b32_e32 v12, 8, v7
	v_bfe_u32 v13, v7, 20, 11
	v_sub_u32_e32 v14, 0x3f1, v10
	v_cndmask_b32_e64 v6, 0, 1, vcc
	v_and_or_b32 v4, v9, s15, v4
	v_sub_u32_e32 v15, 0x3f1, v13
	v_med3_i32 v9, v14, 0, 13
	v_and_or_b32 v6, v12, s15, v6
	v_or_b32_e32 v14, 0x1000, v4
	v_add_u32_e32 v10, 0xfffffc10, v10
	v_med3_i32 v12, v15, 0, 13
	v_cmp_ne_u32_e32 vcc, 0, v4
	v_or_b32_e32 v16, 0x1000, v6
	v_lshrrev_b32_e32 v18, v9, v14
	v_add_u32_e32 v13, 0xfffffc10, v13
	v_lshl_or_b32 v15, v10, 12, v4
	v_cndmask_b32_e64 v4, 0, 1, vcc
	v_cmp_ne_u32_e32 vcc, 0, v6
	v_lshrrev_b32_e32 v19, v12, v16
	v_lshlrev_b32_e32 v9, v9, v18
	v_lshl_or_b32 v17, v13, 12, v6
	v_cndmask_b32_e64 v6, 0, 1, vcc
	v_lshlrev_b32_e32 v12, v12, v19
	v_cmp_ne_u32_e32 vcc, v9, v14
	v_lshl_or_b32 v4, v4, 9, v2
	v_lshl_or_b32 v6, v6, 9, v2
	v_cndmask_b32_e64 v9, 0, 1, vcc
	v_cmp_ne_u32_e32 vcc, v12, v16
	v_or_b32_e32 v9, v18, v9
	v_and_b32_sdwa v5, v5, s14 dst_sel:DWORD dst_unused:UNUSED_PAD src0_sel:WORD_1 src1_sel:DWORD
	v_cndmask_b32_e64 v12, 0, 1, vcc
	v_cmp_gt_i32_e32 vcc, 1, v10
	v_or_b32_e32 v12, v19, v12
	v_lshrrev_b32_e32 v7, 16, v7
	v_cndmask_b32_e32 v9, v15, v9, vcc
	v_cmp_gt_i32_e32 vcc, 1, v13
	v_and_b32_e32 v14, 7, v9
	v_cmp_eq_u32_e64 s[0:1], 3, v14
	v_cndmask_b32_e32 v12, v17, v12, vcc
	v_cmp_lt_i32_e32 vcc, 5, v14
	v_lshrrev_b32_e32 v9, 2, v9
	v_and_b32_e32 v15, 7, v12
	s_or_b64 vcc, s[0:1], vcc
	v_cmp_lt_i32_e64 s[2:3], 5, v15
	v_cmp_eq_u32_e64 s[4:5], 3, v15
	v_addc_co_u32_e32 v9, vcc, 0, v9, vcc
	v_lshrrev_b32_e32 v12, 2, v12
	s_or_b64 vcc, s[4:5], s[2:3]
	v_addc_co_u32_e32 v12, vcc, 0, v12, vcc
	v_cmp_gt_i32_e32 vcc, 31, v10
	s_nop 1
	v_cndmask_b32_e32 v9, v2, v9, vcc
	v_cmp_gt_i32_e32 vcc, 31, v13
	s_nop 1
	v_cndmask_b32_e32 v12, v2, v12, vcc
	v_cmp_eq_u32_e32 vcc, s10, v10
	s_nop 1
	v_cndmask_b32_e32 v4, v9, v4, vcc
	v_cmp_eq_u32_e32 vcc, s10, v13
	v_bitop3_b32 v4, v5, s17, v4 bitop3:0xc8
	s_nop 0
	v_cndmask_b32_e32 v6, v12, v6, vcc
	v_and_or_b32 v6, v7, s14, v6
	v_lshl_or_b32 v4, v6, 16, v4
	global_store_dword v[0:1], v4, off
	global_load_dword v6, v8, s[12:13] offset:1296
	v_add_u32_e32 v4, 0x400, v11
	ds_read2_b32 v[4:5], v4 offset0:68 offset1:176
	v_mad_u64_u32 v[0:1], s[0:1], s8, v3, v[0:1]
	v_add_u32_e32 v1, s9, v1
	s_waitcnt lgkmcnt(0)
	v_lshrrev_b32_e32 v7, 16, v4
	s_waitcnt vmcnt(0)
	v_mul_f16_sdwa v9, v7, v6 dst_sel:DWORD dst_unused:UNUSED_PAD src0_sel:DWORD src1_sel:WORD_1
	v_mul_f16_sdwa v10, v4, v6 dst_sel:DWORD dst_unused:UNUSED_PAD src0_sel:DWORD src1_sel:WORD_1
	v_fma_f16 v4, v4, v6, v9
	v_fma_f16 v6, v6, v7, -v10
	v_cvt_f32_f16_e32 v4, v4
	v_cvt_f32_f16_e32 v9, v6
	v_cvt_f64_f32_e32 v[6:7], v4
	v_cvt_f64_f32_e32 v[12:13], v9
	v_mul_f64 v[6:7], v[6:7], s[6:7]
	v_mul_f64 v[12:13], v[12:13], s[6:7]
	v_and_or_b32 v4, v7, s16, v6
	v_and_or_b32 v10, v13, s16, v12
	v_cmp_ne_u32_e32 vcc, 0, v4
	v_lshrrev_b32_e32 v6, 8, v7
	v_bfe_u32 v9, v7, 20, 11
	v_cndmask_b32_e64 v4, 0, 1, vcc
	v_cmp_ne_u32_e32 vcc, 0, v10
	v_lshrrev_b32_e32 v12, 8, v13
	v_bfe_u32 v14, v13, 20, 11
	v_sub_u32_e32 v15, 0x3f1, v9
	v_cndmask_b32_e64 v10, 0, 1, vcc
	v_and_or_b32 v4, v6, s15, v4
	v_sub_u32_e32 v16, 0x3f1, v14
	v_med3_i32 v6, v15, 0, 13
	v_and_or_b32 v10, v12, s15, v10
	v_or_b32_e32 v15, 0x1000, v4
	v_add_u32_e32 v9, 0xfffffc10, v9
	v_med3_i32 v12, v16, 0, 13
	v_cmp_ne_u32_e32 vcc, 0, v4
	v_or_b32_e32 v17, 0x1000, v10
	v_lshrrev_b32_e32 v19, v6, v15
	v_add_u32_e32 v14, 0xfffffc10, v14
	v_lshl_or_b32 v16, v9, 12, v4
	v_cndmask_b32_e64 v4, 0, 1, vcc
	v_cmp_ne_u32_e32 vcc, 0, v10
	v_lshrrev_b32_e32 v20, v12, v17
	v_lshlrev_b32_e32 v6, v6, v19
	v_lshl_or_b32 v18, v14, 12, v10
	v_cndmask_b32_e64 v10, 0, 1, vcc
	v_lshlrev_b32_e32 v12, v12, v20
	v_cmp_ne_u32_e32 vcc, v6, v15
	v_lshl_or_b32 v4, v4, 9, v2
	v_lshl_or_b32 v10, v10, 9, v2
	v_cndmask_b32_e64 v6, 0, 1, vcc
	v_cmp_ne_u32_e32 vcc, v12, v17
	v_or_b32_e32 v6, v19, v6
	v_and_b32_sdwa v7, v7, s14 dst_sel:DWORD dst_unused:UNUSED_PAD src0_sel:WORD_1 src1_sel:DWORD
	v_cndmask_b32_e64 v12, 0, 1, vcc
	v_cmp_gt_i32_e32 vcc, 1, v9
	v_or_b32_e32 v12, v20, v12
	v_lshrrev_b32_e32 v13, 16, v13
	v_cndmask_b32_e32 v6, v16, v6, vcc
	v_cmp_gt_i32_e32 vcc, 1, v14
	v_and_b32_e32 v15, 7, v6
	v_cmp_eq_u32_e64 s[0:1], 3, v15
	v_cndmask_b32_e32 v12, v18, v12, vcc
	v_cmp_lt_i32_e32 vcc, 5, v15
	v_lshrrev_b32_e32 v6, 2, v6
	v_and_b32_e32 v16, 7, v12
	s_or_b64 vcc, s[0:1], vcc
	v_cmp_lt_i32_e64 s[2:3], 5, v16
	v_cmp_eq_u32_e64 s[4:5], 3, v16
	v_addc_co_u32_e32 v6, vcc, 0, v6, vcc
	v_lshrrev_b32_e32 v12, 2, v12
	s_or_b64 vcc, s[4:5], s[2:3]
	v_addc_co_u32_e32 v12, vcc, 0, v12, vcc
	v_cmp_gt_i32_e32 vcc, 31, v9
	s_nop 1
	v_cndmask_b32_e32 v6, v2, v6, vcc
	v_cmp_gt_i32_e32 vcc, 31, v14
	s_nop 1
	v_cndmask_b32_e32 v12, v2, v12, vcc
	v_cmp_eq_u32_e32 vcc, s10, v9
	s_nop 1
	v_cndmask_b32_e32 v4, v6, v4, vcc
	v_cmp_eq_u32_e32 vcc, s10, v14
	v_bitop3_b32 v4, v7, s17, v4 bitop3:0xc8
	s_nop 0
	v_cndmask_b32_e32 v6, v12, v10, vcc
	v_and_or_b32 v6, v13, s14, v6
	v_lshl_or_b32 v4, v6, 16, v4
	global_store_dword v[0:1], v4, off
	global_load_dword v4, v8, s[12:13] offset:1728
	v_lshrrev_b32_e32 v6, 16, v5
	v_mad_u64_u32 v[0:1], s[0:1], s8, v3, v[0:1]
	v_add_u32_e32 v1, s9, v1
	s_waitcnt vmcnt(0)
	v_mul_f16_sdwa v7, v6, v4 dst_sel:DWORD dst_unused:UNUSED_PAD src0_sel:DWORD src1_sel:WORD_1
	v_mul_f16_sdwa v9, v5, v4 dst_sel:DWORD dst_unused:UNUSED_PAD src0_sel:DWORD src1_sel:WORD_1
	v_fma_f16 v5, v5, v4, v7
	v_fma_f16 v4, v4, v6, -v9
	v_cvt_f32_f16_e32 v5, v5
	v_cvt_f32_f16_e32 v6, v4
	v_cvt_f64_f32_e32 v[4:5], v5
	v_cvt_f64_f32_e32 v[6:7], v6
	v_mul_f64 v[4:5], v[4:5], s[6:7]
	v_mul_f64 v[6:7], v[6:7], s[6:7]
	v_and_or_b32 v4, v5, s16, v4
	v_and_or_b32 v6, v7, s16, v6
	v_cmp_ne_u32_e32 vcc, 0, v4
	v_lshrrev_b32_e32 v9, 8, v5
	v_bfe_u32 v10, v5, 20, 11
	v_cndmask_b32_e64 v4, 0, 1, vcc
	v_cmp_ne_u32_e32 vcc, 0, v6
	v_lshrrev_b32_e32 v12, 8, v7
	v_bfe_u32 v13, v7, 20, 11
	v_sub_u32_e32 v14, 0x3f1, v10
	v_cndmask_b32_e64 v6, 0, 1, vcc
	v_and_or_b32 v4, v9, s15, v4
	v_sub_u32_e32 v15, 0x3f1, v13
	v_med3_i32 v9, v14, 0, 13
	v_and_or_b32 v6, v12, s15, v6
	v_or_b32_e32 v14, 0x1000, v4
	v_add_u32_e32 v10, 0xfffffc10, v10
	v_med3_i32 v12, v15, 0, 13
	v_cmp_ne_u32_e32 vcc, 0, v4
	v_or_b32_e32 v16, 0x1000, v6
	v_lshrrev_b32_e32 v18, v9, v14
	v_add_u32_e32 v13, 0xfffffc10, v13
	v_lshl_or_b32 v15, v10, 12, v4
	v_cndmask_b32_e64 v4, 0, 1, vcc
	v_cmp_ne_u32_e32 vcc, 0, v6
	v_lshrrev_b32_e32 v19, v12, v16
	v_lshlrev_b32_e32 v9, v9, v18
	v_lshl_or_b32 v17, v13, 12, v6
	v_cndmask_b32_e64 v6, 0, 1, vcc
	v_lshlrev_b32_e32 v12, v12, v19
	v_cmp_ne_u32_e32 vcc, v9, v14
	v_lshl_or_b32 v4, v4, 9, v2
	v_lshl_or_b32 v6, v6, 9, v2
	v_cndmask_b32_e64 v9, 0, 1, vcc
	v_cmp_ne_u32_e32 vcc, v12, v16
	v_or_b32_e32 v9, v18, v9
	v_and_b32_sdwa v5, v5, s14 dst_sel:DWORD dst_unused:UNUSED_PAD src0_sel:WORD_1 src1_sel:DWORD
	v_cndmask_b32_e64 v12, 0, 1, vcc
	v_cmp_gt_i32_e32 vcc, 1, v10
	v_or_b32_e32 v12, v19, v12
	v_lshrrev_b32_e32 v7, 16, v7
	v_cndmask_b32_e32 v9, v15, v9, vcc
	v_cmp_gt_i32_e32 vcc, 1, v13
	v_and_b32_e32 v14, 7, v9
	v_cmp_eq_u32_e64 s[0:1], 3, v14
	v_cndmask_b32_e32 v12, v17, v12, vcc
	v_cmp_lt_i32_e32 vcc, 5, v14
	v_lshrrev_b32_e32 v9, 2, v9
	v_and_b32_e32 v15, 7, v12
	s_or_b64 vcc, s[0:1], vcc
	v_cmp_lt_i32_e64 s[2:3], 5, v15
	v_cmp_eq_u32_e64 s[4:5], 3, v15
	v_addc_co_u32_e32 v9, vcc, 0, v9, vcc
	v_lshrrev_b32_e32 v12, 2, v12
	s_or_b64 vcc, s[4:5], s[2:3]
	v_addc_co_u32_e32 v12, vcc, 0, v12, vcc
	v_cmp_gt_i32_e32 vcc, 31, v10
	s_nop 1
	v_cndmask_b32_e32 v9, v2, v9, vcc
	v_cmp_gt_i32_e32 vcc, 31, v13
	s_nop 1
	v_cndmask_b32_e32 v12, v2, v12, vcc
	v_cmp_eq_u32_e32 vcc, s10, v10
	s_nop 1
	v_cndmask_b32_e32 v4, v9, v4, vcc
	v_cmp_eq_u32_e32 vcc, s10, v13
	v_bitop3_b32 v4, v5, s17, v4 bitop3:0xc8
	s_nop 0
	v_cndmask_b32_e32 v6, v12, v6, vcc
	v_and_or_b32 v6, v7, s14, v6
	v_lshl_or_b32 v4, v6, 16, v4
	global_store_dword v[0:1], v4, off
	global_load_dword v6, v8, s[12:13] offset:2160
	v_add_u32_e32 v4, 0x800, v11
	ds_read2_b32 v[4:5], v4 offset0:28 offset1:136
	v_mad_u64_u32 v[0:1], s[0:1], s8, v3, v[0:1]
	v_add_u32_e32 v1, s9, v1
	s_waitcnt lgkmcnt(0)
	v_lshrrev_b32_e32 v7, 16, v4
	s_waitcnt vmcnt(0)
	v_mul_f16_sdwa v9, v7, v6 dst_sel:DWORD dst_unused:UNUSED_PAD src0_sel:DWORD src1_sel:WORD_1
	v_mul_f16_sdwa v10, v4, v6 dst_sel:DWORD dst_unused:UNUSED_PAD src0_sel:DWORD src1_sel:WORD_1
	v_fma_f16 v4, v4, v6, v9
	v_fma_f16 v6, v6, v7, -v10
	v_cvt_f32_f16_e32 v4, v4
	v_cvt_f32_f16_e32 v9, v6
	v_cvt_f64_f32_e32 v[6:7], v4
	v_cvt_f64_f32_e32 v[12:13], v9
	v_mul_f64 v[6:7], v[6:7], s[6:7]
	v_mul_f64 v[12:13], v[12:13], s[6:7]
	v_and_or_b32 v4, v7, s16, v6
	v_and_or_b32 v10, v13, s16, v12
	v_cmp_ne_u32_e32 vcc, 0, v4
	v_lshrrev_b32_e32 v6, 8, v7
	v_bfe_u32 v9, v7, 20, 11
	v_cndmask_b32_e64 v4, 0, 1, vcc
	v_cmp_ne_u32_e32 vcc, 0, v10
	v_lshrrev_b32_e32 v12, 8, v13
	v_bfe_u32 v14, v13, 20, 11
	v_sub_u32_e32 v15, 0x3f1, v9
	v_cndmask_b32_e64 v10, 0, 1, vcc
	v_and_or_b32 v4, v6, s15, v4
	v_sub_u32_e32 v16, 0x3f1, v14
	v_med3_i32 v6, v15, 0, 13
	v_and_or_b32 v10, v12, s15, v10
	v_or_b32_e32 v15, 0x1000, v4
	v_add_u32_e32 v9, 0xfffffc10, v9
	v_med3_i32 v12, v16, 0, 13
	v_cmp_ne_u32_e32 vcc, 0, v4
	v_or_b32_e32 v17, 0x1000, v10
	v_lshrrev_b32_e32 v19, v6, v15
	v_add_u32_e32 v14, 0xfffffc10, v14
	v_lshl_or_b32 v16, v9, 12, v4
	v_cndmask_b32_e64 v4, 0, 1, vcc
	v_cmp_ne_u32_e32 vcc, 0, v10
	v_lshrrev_b32_e32 v20, v12, v17
	v_lshlrev_b32_e32 v6, v6, v19
	v_lshl_or_b32 v18, v14, 12, v10
	v_cndmask_b32_e64 v10, 0, 1, vcc
	v_lshlrev_b32_e32 v12, v12, v20
	v_cmp_ne_u32_e32 vcc, v6, v15
	v_lshl_or_b32 v4, v4, 9, v2
	v_lshl_or_b32 v10, v10, 9, v2
	v_cndmask_b32_e64 v6, 0, 1, vcc
	v_cmp_ne_u32_e32 vcc, v12, v17
	v_or_b32_e32 v6, v19, v6
	v_and_b32_sdwa v7, v7, s14 dst_sel:DWORD dst_unused:UNUSED_PAD src0_sel:WORD_1 src1_sel:DWORD
	v_cndmask_b32_e64 v12, 0, 1, vcc
	v_cmp_gt_i32_e32 vcc, 1, v9
	v_or_b32_e32 v12, v20, v12
	v_lshrrev_b32_e32 v13, 16, v13
	v_cndmask_b32_e32 v6, v16, v6, vcc
	v_cmp_gt_i32_e32 vcc, 1, v14
	v_and_b32_e32 v15, 7, v6
	v_cmp_eq_u32_e64 s[0:1], 3, v15
	v_cndmask_b32_e32 v12, v18, v12, vcc
	v_cmp_lt_i32_e32 vcc, 5, v15
	v_lshrrev_b32_e32 v6, 2, v6
	v_and_b32_e32 v16, 7, v12
	s_or_b64 vcc, s[0:1], vcc
	v_cmp_lt_i32_e64 s[2:3], 5, v16
	v_cmp_eq_u32_e64 s[4:5], 3, v16
	v_addc_co_u32_e32 v6, vcc, 0, v6, vcc
	v_lshrrev_b32_e32 v12, 2, v12
	s_or_b64 vcc, s[4:5], s[2:3]
	v_addc_co_u32_e32 v12, vcc, 0, v12, vcc
	v_cmp_gt_i32_e32 vcc, 31, v9
	s_nop 1
	v_cndmask_b32_e32 v6, v2, v6, vcc
	v_cmp_gt_i32_e32 vcc, 31, v14
	s_nop 1
	v_cndmask_b32_e32 v12, v2, v12, vcc
	v_cmp_eq_u32_e32 vcc, s10, v9
	s_nop 1
	v_cndmask_b32_e32 v4, v6, v4, vcc
	v_cmp_eq_u32_e32 vcc, s10, v14
	v_bitop3_b32 v4, v7, s17, v4 bitop3:0xc8
	s_nop 0
	v_cndmask_b32_e32 v6, v12, v10, vcc
	v_and_or_b32 v6, v13, s14, v6
	v_lshl_or_b32 v4, v6, 16, v4
	global_store_dword v[0:1], v4, off
	global_load_dword v4, v8, s[12:13] offset:2592
	v_lshrrev_b32_e32 v6, 16, v5
	v_mad_u64_u32 v[0:1], s[0:1], s8, v3, v[0:1]
	v_add_u32_e32 v1, s9, v1
	s_waitcnt vmcnt(0)
	v_mul_f16_sdwa v7, v6, v4 dst_sel:DWORD dst_unused:UNUSED_PAD src0_sel:DWORD src1_sel:WORD_1
	v_mul_f16_sdwa v9, v5, v4 dst_sel:DWORD dst_unused:UNUSED_PAD src0_sel:DWORD src1_sel:WORD_1
	v_fma_f16 v5, v5, v4, v7
	v_fma_f16 v4, v4, v6, -v9
	v_cvt_f32_f16_e32 v5, v5
	v_cvt_f32_f16_e32 v6, v4
	v_cvt_f64_f32_e32 v[4:5], v5
	v_cvt_f64_f32_e32 v[6:7], v6
	v_mul_f64 v[4:5], v[4:5], s[6:7]
	v_mul_f64 v[6:7], v[6:7], s[6:7]
	v_and_or_b32 v4, v5, s16, v4
	v_and_or_b32 v6, v7, s16, v6
	v_cmp_ne_u32_e32 vcc, 0, v4
	v_lshrrev_b32_e32 v9, 8, v5
	v_bfe_u32 v10, v5, 20, 11
	v_cndmask_b32_e64 v4, 0, 1, vcc
	v_cmp_ne_u32_e32 vcc, 0, v6
	v_lshrrev_b32_e32 v12, 8, v7
	v_bfe_u32 v13, v7, 20, 11
	v_sub_u32_e32 v14, 0x3f1, v10
	v_cndmask_b32_e64 v6, 0, 1, vcc
	v_and_or_b32 v4, v9, s15, v4
	v_sub_u32_e32 v15, 0x3f1, v13
	v_med3_i32 v9, v14, 0, 13
	v_and_or_b32 v6, v12, s15, v6
	v_or_b32_e32 v14, 0x1000, v4
	v_add_u32_e32 v10, 0xfffffc10, v10
	v_med3_i32 v12, v15, 0, 13
	v_cmp_ne_u32_e32 vcc, 0, v4
	v_or_b32_e32 v16, 0x1000, v6
	v_lshrrev_b32_e32 v18, v9, v14
	v_add_u32_e32 v13, 0xfffffc10, v13
	v_lshl_or_b32 v15, v10, 12, v4
	v_cndmask_b32_e64 v4, 0, 1, vcc
	v_cmp_ne_u32_e32 vcc, 0, v6
	v_lshrrev_b32_e32 v19, v12, v16
	v_lshlrev_b32_e32 v9, v9, v18
	v_lshl_or_b32 v17, v13, 12, v6
	v_cndmask_b32_e64 v6, 0, 1, vcc
	v_lshlrev_b32_e32 v12, v12, v19
	v_cmp_ne_u32_e32 vcc, v9, v14
	v_lshl_or_b32 v4, v4, 9, v2
	v_lshl_or_b32 v6, v6, 9, v2
	v_cndmask_b32_e64 v9, 0, 1, vcc
	v_cmp_ne_u32_e32 vcc, v12, v16
	v_or_b32_e32 v9, v18, v9
	v_and_b32_sdwa v5, v5, s14 dst_sel:DWORD dst_unused:UNUSED_PAD src0_sel:WORD_1 src1_sel:DWORD
	v_cndmask_b32_e64 v12, 0, 1, vcc
	v_cmp_gt_i32_e32 vcc, 1, v10
	v_or_b32_e32 v12, v19, v12
	v_lshrrev_b32_e32 v7, 16, v7
	v_cndmask_b32_e32 v9, v15, v9, vcc
	v_cmp_gt_i32_e32 vcc, 1, v13
	v_and_b32_e32 v14, 7, v9
	v_cmp_eq_u32_e64 s[0:1], 3, v14
	v_cndmask_b32_e32 v12, v17, v12, vcc
	v_cmp_lt_i32_e32 vcc, 5, v14
	v_lshrrev_b32_e32 v9, 2, v9
	v_and_b32_e32 v15, 7, v12
	s_or_b64 vcc, s[0:1], vcc
	v_cmp_lt_i32_e64 s[2:3], 5, v15
	v_cmp_eq_u32_e64 s[4:5], 3, v15
	v_addc_co_u32_e32 v9, vcc, 0, v9, vcc
	v_lshrrev_b32_e32 v12, 2, v12
	s_or_b64 vcc, s[4:5], s[2:3]
	v_addc_co_u32_e32 v12, vcc, 0, v12, vcc
	v_cmp_gt_i32_e32 vcc, 31, v10
	s_nop 1
	v_cndmask_b32_e32 v9, v2, v9, vcc
	v_cmp_gt_i32_e32 vcc, 31, v13
	s_nop 1
	v_cndmask_b32_e32 v12, v2, v12, vcc
	v_cmp_eq_u32_e32 vcc, s10, v10
	s_nop 1
	v_cndmask_b32_e32 v4, v9, v4, vcc
	v_cmp_eq_u32_e32 vcc, s10, v13
	v_bitop3_b32 v4, v5, s17, v4 bitop3:0xc8
	s_nop 0
	v_cndmask_b32_e32 v6, v12, v6, vcc
	v_and_or_b32 v6, v7, s14, v6
	v_lshl_or_b32 v4, v6, 16, v4
	global_store_dword v[0:1], v4, off
	global_load_dword v6, v8, s[12:13] offset:3024
	v_add_u32_e32 v4, 0xa00, v11
	ds_read2_b32 v[4:5], v4 offset0:116 offset1:224
	v_mad_u64_u32 v[0:1], s[0:1], s8, v3, v[0:1]
	v_add_u32_e32 v1, s9, v1
	s_waitcnt lgkmcnt(0)
	v_lshrrev_b32_e32 v7, 16, v4
	s_waitcnt vmcnt(0)
	v_mul_f16_sdwa v9, v7, v6 dst_sel:DWORD dst_unused:UNUSED_PAD src0_sel:DWORD src1_sel:WORD_1
	v_mul_f16_sdwa v10, v4, v6 dst_sel:DWORD dst_unused:UNUSED_PAD src0_sel:DWORD src1_sel:WORD_1
	v_fma_f16 v4, v4, v6, v9
	v_fma_f16 v6, v6, v7, -v10
	v_cvt_f32_f16_e32 v4, v4
	v_cvt_f32_f16_e32 v9, v6
	v_cvt_f64_f32_e32 v[6:7], v4
	v_cvt_f64_f32_e32 v[12:13], v9
	v_mul_f64 v[6:7], v[6:7], s[6:7]
	v_mul_f64 v[12:13], v[12:13], s[6:7]
	v_and_or_b32 v4, v7, s16, v6
	v_and_or_b32 v10, v13, s16, v12
	v_cmp_ne_u32_e32 vcc, 0, v4
	v_lshrrev_b32_e32 v6, 8, v7
	v_bfe_u32 v9, v7, 20, 11
	v_cndmask_b32_e64 v4, 0, 1, vcc
	v_cmp_ne_u32_e32 vcc, 0, v10
	v_lshrrev_b32_e32 v12, 8, v13
	v_bfe_u32 v14, v13, 20, 11
	v_sub_u32_e32 v15, 0x3f1, v9
	v_cndmask_b32_e64 v10, 0, 1, vcc
	v_and_or_b32 v4, v6, s15, v4
	v_sub_u32_e32 v16, 0x3f1, v14
	v_med3_i32 v6, v15, 0, 13
	v_and_or_b32 v10, v12, s15, v10
	v_or_b32_e32 v15, 0x1000, v4
	v_add_u32_e32 v9, 0xfffffc10, v9
	v_med3_i32 v12, v16, 0, 13
	v_cmp_ne_u32_e32 vcc, 0, v4
	v_or_b32_e32 v17, 0x1000, v10
	v_lshrrev_b32_e32 v19, v6, v15
	v_add_u32_e32 v14, 0xfffffc10, v14
	v_lshl_or_b32 v16, v9, 12, v4
	v_cndmask_b32_e64 v4, 0, 1, vcc
	v_cmp_ne_u32_e32 vcc, 0, v10
	v_lshrrev_b32_e32 v20, v12, v17
	v_lshlrev_b32_e32 v6, v6, v19
	v_lshl_or_b32 v18, v14, 12, v10
	v_cndmask_b32_e64 v10, 0, 1, vcc
	v_lshlrev_b32_e32 v12, v12, v20
	v_cmp_ne_u32_e32 vcc, v6, v15
	v_lshl_or_b32 v4, v4, 9, v2
	v_lshl_or_b32 v10, v10, 9, v2
	v_cndmask_b32_e64 v6, 0, 1, vcc
	v_cmp_ne_u32_e32 vcc, v12, v17
	v_or_b32_e32 v6, v19, v6
	v_and_b32_sdwa v7, v7, s14 dst_sel:DWORD dst_unused:UNUSED_PAD src0_sel:WORD_1 src1_sel:DWORD
	v_cndmask_b32_e64 v12, 0, 1, vcc
	v_cmp_gt_i32_e32 vcc, 1, v9
	v_or_b32_e32 v12, v20, v12
	v_lshrrev_b32_e32 v13, 16, v13
	v_cndmask_b32_e32 v6, v16, v6, vcc
	v_cmp_gt_i32_e32 vcc, 1, v14
	v_and_b32_e32 v15, 7, v6
	v_cmp_eq_u32_e64 s[0:1], 3, v15
	v_cndmask_b32_e32 v12, v18, v12, vcc
	v_cmp_lt_i32_e32 vcc, 5, v15
	v_lshrrev_b32_e32 v6, 2, v6
	v_and_b32_e32 v16, 7, v12
	s_or_b64 vcc, s[0:1], vcc
	v_cmp_lt_i32_e64 s[2:3], 5, v16
	v_cmp_eq_u32_e64 s[4:5], 3, v16
	v_addc_co_u32_e32 v6, vcc, 0, v6, vcc
	v_lshrrev_b32_e32 v12, 2, v12
	s_or_b64 vcc, s[4:5], s[2:3]
	v_addc_co_u32_e32 v12, vcc, 0, v12, vcc
	v_cmp_gt_i32_e32 vcc, 31, v9
	s_nop 1
	v_cndmask_b32_e32 v6, v2, v6, vcc
	v_cmp_gt_i32_e32 vcc, 31, v14
	s_nop 1
	v_cndmask_b32_e32 v12, v2, v12, vcc
	v_cmp_eq_u32_e32 vcc, s10, v9
	s_nop 1
	v_cndmask_b32_e32 v4, v6, v4, vcc
	v_cmp_eq_u32_e32 vcc, s10, v14
	v_bitop3_b32 v4, v7, s17, v4 bitop3:0xc8
	s_nop 0
	v_cndmask_b32_e32 v6, v12, v10, vcc
	v_and_or_b32 v6, v13, s14, v6
	v_lshl_or_b32 v4, v6, 16, v4
	global_store_dword v[0:1], v4, off
	global_load_dword v4, v8, s[12:13] offset:3456
	v_lshrrev_b32_e32 v6, 16, v5
	s_waitcnt vmcnt(0)
	v_mul_f16_sdwa v7, v6, v4 dst_sel:DWORD dst_unused:UNUSED_PAD src0_sel:DWORD src1_sel:WORD_1
	v_mul_f16_sdwa v9, v5, v4 dst_sel:DWORD dst_unused:UNUSED_PAD src0_sel:DWORD src1_sel:WORD_1
	v_fma_f16 v5, v5, v4, v7
	v_fma_f16 v4, v4, v6, -v9
	v_cvt_f32_f16_e32 v6, v5
	v_cvt_f32_f16_e32 v7, v4
	v_mad_u64_u32 v[4:5], s[0:1], s8, v3, v[0:1]
	v_cvt_f64_f32_e32 v[0:1], v6
	v_cvt_f64_f32_e32 v[6:7], v7
	v_mul_f64 v[0:1], v[0:1], s[6:7]
	v_mul_f64 v[6:7], v[6:7], s[6:7]
	v_and_or_b32 v0, v1, s16, v0
	v_and_or_b32 v6, v7, s16, v6
	v_cmp_ne_u32_e32 vcc, 0, v0
	v_lshrrev_b32_e32 v9, 8, v1
	v_bfe_u32 v10, v1, 20, 11
	v_cndmask_b32_e64 v0, 0, 1, vcc
	v_cmp_ne_u32_e32 vcc, 0, v6
	v_lshrrev_b32_e32 v12, 8, v7
	v_bfe_u32 v13, v7, 20, 11
	v_sub_u32_e32 v14, 0x3f1, v10
	v_cndmask_b32_e64 v6, 0, 1, vcc
	v_and_or_b32 v0, v9, s15, v0
	v_sub_u32_e32 v15, 0x3f1, v13
	v_med3_i32 v9, v14, 0, 13
	v_and_or_b32 v6, v12, s15, v6
	v_or_b32_e32 v14, 0x1000, v0
	v_add_u32_e32 v10, 0xfffffc10, v10
	v_med3_i32 v12, v15, 0, 13
	v_cmp_ne_u32_e32 vcc, 0, v0
	v_or_b32_e32 v16, 0x1000, v6
	v_lshrrev_b32_e32 v18, v9, v14
	v_add_u32_e32 v13, 0xfffffc10, v13
	v_lshl_or_b32 v15, v10, 12, v0
	v_cndmask_b32_e64 v0, 0, 1, vcc
	v_cmp_ne_u32_e32 vcc, 0, v6
	v_lshrrev_b32_e32 v19, v12, v16
	v_lshlrev_b32_e32 v9, v9, v18
	v_lshl_or_b32 v17, v13, 12, v6
	v_cndmask_b32_e64 v6, 0, 1, vcc
	v_lshlrev_b32_e32 v12, v12, v19
	v_cmp_ne_u32_e32 vcc, v9, v14
	v_lshl_or_b32 v0, v0, 9, v2
	v_lshl_or_b32 v6, v6, 9, v2
	v_cndmask_b32_e64 v9, 0, 1, vcc
	v_cmp_ne_u32_e32 vcc, v12, v16
	v_or_b32_e32 v9, v18, v9
	v_and_b32_sdwa v1, v1, s14 dst_sel:DWORD dst_unused:UNUSED_PAD src0_sel:WORD_1 src1_sel:DWORD
	v_cndmask_b32_e64 v12, 0, 1, vcc
	v_cmp_gt_i32_e32 vcc, 1, v10
	v_or_b32_e32 v12, v19, v12
	v_lshrrev_b32_e32 v7, 16, v7
	v_cndmask_b32_e32 v9, v15, v9, vcc
	v_cmp_gt_i32_e32 vcc, 1, v13
	v_and_b32_e32 v14, 7, v9
	v_cmp_eq_u32_e64 s[0:1], 3, v14
	v_cndmask_b32_e32 v12, v17, v12, vcc
	v_cmp_lt_i32_e32 vcc, 5, v14
	v_lshrrev_b32_e32 v9, 2, v9
	v_and_b32_e32 v15, 7, v12
	s_or_b64 vcc, s[0:1], vcc
	v_cmp_lt_i32_e64 s[2:3], 5, v15
	v_cmp_eq_u32_e64 s[4:5], 3, v15
	v_addc_co_u32_e32 v9, vcc, 0, v9, vcc
	v_lshrrev_b32_e32 v12, 2, v12
	s_or_b64 vcc, s[4:5], s[2:3]
	v_addc_co_u32_e32 v12, vcc, 0, v12, vcc
	v_cmp_gt_i32_e32 vcc, 31, v10
	v_add_u32_e32 v5, s9, v5
	s_movk_i32 s0, 0x1000
	v_cndmask_b32_e32 v9, v2, v9, vcc
	v_cmp_gt_i32_e32 vcc, 31, v13
	s_nop 1
	v_cndmask_b32_e32 v12, v2, v12, vcc
	v_cmp_eq_u32_e32 vcc, s10, v10
	s_nop 1
	v_cndmask_b32_e32 v0, v9, v0, vcc
	v_cmp_eq_u32_e32 vcc, s10, v13
	v_bitop3_b32 v0, v1, s17, v0 bitop3:0xc8
	v_mov_b32_e32 v9, 0
	v_cndmask_b32_e32 v6, v12, v6, vcc
	v_and_or_b32 v6, v7, s14, v6
	v_lshl_or_b32 v0, v6, 16, v0
	global_store_dword v[4:5], v0, off
	global_load_dword v10, v8, s[12:13] offset:3888
	v_add_u32_e32 v6, 0xe00, v11
	ds_read2_b32 v[6:7], v6 offset0:76 offset1:184
	v_lshl_add_u64 v[0:1], s[12:13], 0, v[8:9]
	v_add_co_u32_e32 v0, vcc, s0, v0
	v_mad_u64_u32 v[4:5], s[0:1], s8, v3, v[4:5]
	s_waitcnt lgkmcnt(0)
	v_lshrrev_b32_e32 v8, 16, v6
	v_addc_co_u32_e32 v1, vcc, 0, v1, vcc
	v_add_u32_e32 v5, s9, v5
	s_waitcnt vmcnt(0)
	v_mul_f16_sdwa v9, v8, v10 dst_sel:DWORD dst_unused:UNUSED_PAD src0_sel:DWORD src1_sel:WORD_1
	v_mul_f16_sdwa v12, v6, v10 dst_sel:DWORD dst_unused:UNUSED_PAD src0_sel:DWORD src1_sel:WORD_1
	v_fma_f16 v6, v6, v10, v9
	v_fma_f16 v8, v10, v8, -v12
	v_cvt_f32_f16_e32 v6, v6
	v_cvt_f32_f16_e32 v10, v8
	v_cvt_f64_f32_e32 v[8:9], v6
	v_cvt_f64_f32_e32 v[12:13], v10
	v_mul_f64 v[8:9], v[8:9], s[6:7]
	v_mul_f64 v[12:13], v[12:13], s[6:7]
	v_and_or_b32 v6, v9, s16, v8
	v_and_or_b32 v12, v13, s16, v12
	v_cmp_ne_u32_e32 vcc, 0, v6
	v_lshrrev_b32_e32 v8, 8, v9
	v_bfe_u32 v10, v9, 20, 11
	v_cndmask_b32_e64 v6, 0, 1, vcc
	v_cmp_ne_u32_e32 vcc, 0, v12
	v_lshrrev_b32_e32 v14, 8, v13
	v_bfe_u32 v15, v13, 20, 11
	v_sub_u32_e32 v16, 0x3f1, v10
	v_cndmask_b32_e64 v12, 0, 1, vcc
	v_and_or_b32 v6, v8, s15, v6
	v_sub_u32_e32 v17, 0x3f1, v15
	v_med3_i32 v8, v16, 0, 13
	v_and_or_b32 v12, v14, s15, v12
	v_or_b32_e32 v16, 0x1000, v6
	v_add_u32_e32 v10, 0xfffffc10, v10
	v_med3_i32 v14, v17, 0, 13
	v_cmp_ne_u32_e32 vcc, 0, v6
	v_or_b32_e32 v18, 0x1000, v12
	v_lshrrev_b32_e32 v20, v8, v16
	v_add_u32_e32 v15, 0xfffffc10, v15
	v_lshl_or_b32 v17, v10, 12, v6
	v_cndmask_b32_e64 v6, 0, 1, vcc
	v_cmp_ne_u32_e32 vcc, 0, v12
	v_lshrrev_b32_e32 v21, v14, v18
	v_lshlrev_b32_e32 v8, v8, v20
	v_lshl_or_b32 v19, v15, 12, v12
	v_cndmask_b32_e64 v12, 0, 1, vcc
	v_lshlrev_b32_e32 v14, v14, v21
	v_cmp_ne_u32_e32 vcc, v8, v16
	v_lshl_or_b32 v6, v6, 9, v2
	v_lshl_or_b32 v12, v12, 9, v2
	v_cndmask_b32_e64 v8, 0, 1, vcc
	v_cmp_ne_u32_e32 vcc, v14, v18
	v_or_b32_e32 v8, v20, v8
	v_and_b32_sdwa v9, v9, s14 dst_sel:DWORD dst_unused:UNUSED_PAD src0_sel:WORD_1 src1_sel:DWORD
	v_cndmask_b32_e64 v14, 0, 1, vcc
	v_cmp_gt_i32_e32 vcc, 1, v10
	v_or_b32_e32 v14, v21, v14
	v_lshrrev_b32_e32 v13, 16, v13
	v_cndmask_b32_e32 v8, v17, v8, vcc
	v_cmp_gt_i32_e32 vcc, 1, v15
	v_and_b32_e32 v16, 7, v8
	v_cmp_eq_u32_e64 s[0:1], 3, v16
	v_cndmask_b32_e32 v14, v19, v14, vcc
	v_cmp_lt_i32_e32 vcc, 5, v16
	v_lshrrev_b32_e32 v8, 2, v8
	v_and_b32_e32 v17, 7, v14
	s_or_b64 vcc, s[0:1], vcc
	v_cmp_lt_i32_e64 s[2:3], 5, v17
	v_cmp_eq_u32_e64 s[4:5], 3, v17
	v_addc_co_u32_e32 v8, vcc, 0, v8, vcc
	v_lshrrev_b32_e32 v14, 2, v14
	s_or_b64 vcc, s[4:5], s[2:3]
	v_addc_co_u32_e32 v14, vcc, 0, v14, vcc
	v_cmp_gt_i32_e32 vcc, 31, v10
	s_nop 1
	v_cndmask_b32_e32 v8, v2, v8, vcc
	v_cmp_gt_i32_e32 vcc, 31, v15
	s_nop 1
	v_cndmask_b32_e32 v14, v2, v14, vcc
	v_cmp_eq_u32_e32 vcc, s10, v10
	s_nop 1
	v_cndmask_b32_e32 v6, v8, v6, vcc
	v_cmp_eq_u32_e32 vcc, s10, v15
	v_bitop3_b32 v6, v9, s17, v6 bitop3:0xc8
	s_nop 0
	v_cndmask_b32_e32 v8, v14, v12, vcc
	v_and_or_b32 v8, v13, s14, v8
	v_lshl_or_b32 v6, v8, 16, v6
	global_store_dword v[4:5], v6, off
	global_load_dword v6, v[0:1], off offset:224
	v_lshrrev_b32_e32 v8, 16, v7
	v_mad_u64_u32 v[4:5], s[0:1], s8, v3, v[4:5]
	v_add_u32_e32 v5, s9, v5
	s_waitcnt vmcnt(0)
	v_mul_f16_sdwa v9, v8, v6 dst_sel:DWORD dst_unused:UNUSED_PAD src0_sel:DWORD src1_sel:WORD_1
	v_mul_f16_sdwa v10, v7, v6 dst_sel:DWORD dst_unused:UNUSED_PAD src0_sel:DWORD src1_sel:WORD_1
	v_fma_f16 v7, v7, v6, v9
	v_fma_f16 v6, v6, v8, -v10
	v_cvt_f32_f16_e32 v7, v7
	v_cvt_f32_f16_e32 v8, v6
	v_cvt_f64_f32_e32 v[6:7], v7
	v_cvt_f64_f32_e32 v[8:9], v8
	v_mul_f64 v[6:7], v[6:7], s[6:7]
	v_mul_f64 v[8:9], v[8:9], s[6:7]
	v_and_or_b32 v6, v7, s16, v6
	v_and_or_b32 v8, v9, s16, v8
	v_cmp_ne_u32_e32 vcc, 0, v6
	v_lshrrev_b32_e32 v10, 8, v7
	v_bfe_u32 v12, v7, 20, 11
	v_cndmask_b32_e64 v6, 0, 1, vcc
	v_cmp_ne_u32_e32 vcc, 0, v8
	v_lshrrev_b32_e32 v13, 8, v9
	v_bfe_u32 v14, v9, 20, 11
	v_sub_u32_e32 v15, 0x3f1, v12
	v_cndmask_b32_e64 v8, 0, 1, vcc
	v_and_or_b32 v6, v10, s15, v6
	v_sub_u32_e32 v16, 0x3f1, v14
	v_med3_i32 v10, v15, 0, 13
	v_and_or_b32 v8, v13, s15, v8
	v_or_b32_e32 v15, 0x1000, v6
	v_add_u32_e32 v12, 0xfffffc10, v12
	v_med3_i32 v13, v16, 0, 13
	v_cmp_ne_u32_e32 vcc, 0, v6
	v_or_b32_e32 v17, 0x1000, v8
	v_lshrrev_b32_e32 v19, v10, v15
	v_add_u32_e32 v14, 0xfffffc10, v14
	v_lshl_or_b32 v16, v12, 12, v6
	v_cndmask_b32_e64 v6, 0, 1, vcc
	v_cmp_ne_u32_e32 vcc, 0, v8
	v_lshrrev_b32_e32 v20, v13, v17
	v_lshlrev_b32_e32 v10, v10, v19
	v_lshl_or_b32 v18, v14, 12, v8
	v_cndmask_b32_e64 v8, 0, 1, vcc
	v_lshlrev_b32_e32 v13, v13, v20
	v_cmp_ne_u32_e32 vcc, v10, v15
	v_lshl_or_b32 v6, v6, 9, v2
	v_lshl_or_b32 v8, v8, 9, v2
	v_cndmask_b32_e64 v10, 0, 1, vcc
	v_cmp_ne_u32_e32 vcc, v13, v17
	v_or_b32_e32 v10, v19, v10
	v_and_b32_sdwa v7, v7, s14 dst_sel:DWORD dst_unused:UNUSED_PAD src0_sel:WORD_1 src1_sel:DWORD
	v_cndmask_b32_e64 v13, 0, 1, vcc
	v_cmp_gt_i32_e32 vcc, 1, v12
	v_or_b32_e32 v13, v20, v13
	v_lshrrev_b32_e32 v9, 16, v9
	v_cndmask_b32_e32 v10, v16, v10, vcc
	v_cmp_gt_i32_e32 vcc, 1, v14
	v_and_b32_e32 v15, 7, v10
	v_cmp_eq_u32_e64 s[0:1], 3, v15
	v_cndmask_b32_e32 v13, v18, v13, vcc
	v_cmp_lt_i32_e32 vcc, 5, v15
	v_lshrrev_b32_e32 v10, 2, v10
	v_and_b32_e32 v16, 7, v13
	s_or_b64 vcc, s[0:1], vcc
	v_cmp_lt_i32_e64 s[2:3], 5, v16
	v_cmp_eq_u32_e64 s[4:5], 3, v16
	v_addc_co_u32_e32 v10, vcc, 0, v10, vcc
	v_lshrrev_b32_e32 v13, 2, v13
	s_or_b64 vcc, s[4:5], s[2:3]
	v_addc_co_u32_e32 v13, vcc, 0, v13, vcc
	v_cmp_gt_i32_e32 vcc, 31, v12
	s_nop 1
	v_cndmask_b32_e32 v10, v2, v10, vcc
	v_cmp_gt_i32_e32 vcc, 31, v14
	s_nop 1
	v_cndmask_b32_e32 v13, v2, v13, vcc
	v_cmp_eq_u32_e32 vcc, s10, v12
	s_nop 1
	v_cndmask_b32_e32 v6, v10, v6, vcc
	v_cmp_eq_u32_e32 vcc, s10, v14
	v_bitop3_b32 v6, v7, s17, v6 bitop3:0xc8
	s_nop 0
	v_cndmask_b32_e32 v8, v13, v8, vcc
	v_and_or_b32 v8, v9, s14, v8
	v_lshl_or_b32 v6, v8, 16, v6
	global_store_dword v[4:5], v6, off
	global_load_dword v8, v[0:1], off offset:656
	v_add_u32_e32 v6, 0x1200, v11
	ds_read2_b32 v[6:7], v6 offset0:36 offset1:144
	v_mad_u64_u32 v[4:5], s[0:1], s8, v3, v[4:5]
	v_add_u32_e32 v5, s9, v5
	s_waitcnt lgkmcnt(0)
	v_lshrrev_b32_e32 v9, 16, v6
	s_waitcnt vmcnt(0)
	v_mul_f16_sdwa v10, v9, v8 dst_sel:DWORD dst_unused:UNUSED_PAD src0_sel:DWORD src1_sel:WORD_1
	v_mul_f16_sdwa v12, v6, v8 dst_sel:DWORD dst_unused:UNUSED_PAD src0_sel:DWORD src1_sel:WORD_1
	v_fma_f16 v6, v6, v8, v10
	v_fma_f16 v8, v8, v9, -v12
	v_cvt_f32_f16_e32 v6, v6
	v_cvt_f32_f16_e32 v10, v8
	v_cvt_f64_f32_e32 v[8:9], v6
	v_cvt_f64_f32_e32 v[12:13], v10
	v_mul_f64 v[8:9], v[8:9], s[6:7]
	v_mul_f64 v[12:13], v[12:13], s[6:7]
	v_and_or_b32 v6, v9, s16, v8
	v_and_or_b32 v12, v13, s16, v12
	v_cmp_ne_u32_e32 vcc, 0, v6
	v_lshrrev_b32_e32 v8, 8, v9
	v_bfe_u32 v10, v9, 20, 11
	v_cndmask_b32_e64 v6, 0, 1, vcc
	v_cmp_ne_u32_e32 vcc, 0, v12
	v_lshrrev_b32_e32 v14, 8, v13
	v_bfe_u32 v15, v13, 20, 11
	v_sub_u32_e32 v16, 0x3f1, v10
	v_cndmask_b32_e64 v12, 0, 1, vcc
	v_and_or_b32 v6, v8, s15, v6
	v_sub_u32_e32 v17, 0x3f1, v15
	v_med3_i32 v8, v16, 0, 13
	v_and_or_b32 v12, v14, s15, v12
	v_or_b32_e32 v16, 0x1000, v6
	v_add_u32_e32 v10, 0xfffffc10, v10
	v_med3_i32 v14, v17, 0, 13
	v_cmp_ne_u32_e32 vcc, 0, v6
	v_or_b32_e32 v18, 0x1000, v12
	v_lshrrev_b32_e32 v20, v8, v16
	v_add_u32_e32 v15, 0xfffffc10, v15
	v_lshl_or_b32 v17, v10, 12, v6
	v_cndmask_b32_e64 v6, 0, 1, vcc
	v_cmp_ne_u32_e32 vcc, 0, v12
	v_lshrrev_b32_e32 v21, v14, v18
	v_lshlrev_b32_e32 v8, v8, v20
	v_lshl_or_b32 v19, v15, 12, v12
	v_cndmask_b32_e64 v12, 0, 1, vcc
	v_lshlrev_b32_e32 v14, v14, v21
	v_cmp_ne_u32_e32 vcc, v8, v16
	v_lshl_or_b32 v6, v6, 9, v2
	v_lshl_or_b32 v12, v12, 9, v2
	v_cndmask_b32_e64 v8, 0, 1, vcc
	v_cmp_ne_u32_e32 vcc, v14, v18
	v_or_b32_e32 v8, v20, v8
	v_and_b32_sdwa v9, v9, s14 dst_sel:DWORD dst_unused:UNUSED_PAD src0_sel:WORD_1 src1_sel:DWORD
	v_cndmask_b32_e64 v14, 0, 1, vcc
	v_cmp_gt_i32_e32 vcc, 1, v10
	v_or_b32_e32 v14, v21, v14
	v_lshrrev_b32_e32 v13, 16, v13
	v_cndmask_b32_e32 v8, v17, v8, vcc
	v_cmp_gt_i32_e32 vcc, 1, v15
	v_and_b32_e32 v16, 7, v8
	v_cmp_eq_u32_e64 s[0:1], 3, v16
	v_cndmask_b32_e32 v14, v19, v14, vcc
	v_cmp_lt_i32_e32 vcc, 5, v16
	v_lshrrev_b32_e32 v8, 2, v8
	v_and_b32_e32 v17, 7, v14
	s_or_b64 vcc, s[0:1], vcc
	v_cmp_lt_i32_e64 s[2:3], 5, v17
	v_cmp_eq_u32_e64 s[4:5], 3, v17
	v_addc_co_u32_e32 v8, vcc, 0, v8, vcc
	v_lshrrev_b32_e32 v14, 2, v14
	s_or_b64 vcc, s[4:5], s[2:3]
	v_addc_co_u32_e32 v14, vcc, 0, v14, vcc
	v_cmp_gt_i32_e32 vcc, 31, v10
	s_nop 1
	v_cndmask_b32_e32 v8, v2, v8, vcc
	v_cmp_gt_i32_e32 vcc, 31, v15
	s_nop 1
	v_cndmask_b32_e32 v14, v2, v14, vcc
	v_cmp_eq_u32_e32 vcc, s10, v10
	s_nop 1
	v_cndmask_b32_e32 v6, v8, v6, vcc
	v_cmp_eq_u32_e32 vcc, s10, v15
	v_bitop3_b32 v6, v9, s17, v6 bitop3:0xc8
	s_nop 0
	v_cndmask_b32_e32 v8, v14, v12, vcc
	v_and_or_b32 v8, v13, s14, v8
	v_lshl_or_b32 v6, v8, 16, v6
	global_store_dword v[4:5], v6, off
	global_load_dword v6, v[0:1], off offset:1088
	v_lshrrev_b32_e32 v8, 16, v7
	v_mad_u64_u32 v[4:5], s[0:1], s8, v3, v[4:5]
	v_add_u32_e32 v5, s9, v5
	s_waitcnt vmcnt(0)
	v_mul_f16_sdwa v9, v8, v6 dst_sel:DWORD dst_unused:UNUSED_PAD src0_sel:DWORD src1_sel:WORD_1
	v_mul_f16_sdwa v10, v7, v6 dst_sel:DWORD dst_unused:UNUSED_PAD src0_sel:DWORD src1_sel:WORD_1
	v_fma_f16 v7, v7, v6, v9
	v_fma_f16 v6, v6, v8, -v10
	v_cvt_f32_f16_e32 v7, v7
	v_cvt_f32_f16_e32 v8, v6
	v_cvt_f64_f32_e32 v[6:7], v7
	v_cvt_f64_f32_e32 v[8:9], v8
	v_mul_f64 v[6:7], v[6:7], s[6:7]
	v_mul_f64 v[8:9], v[8:9], s[6:7]
	v_and_or_b32 v6, v7, s16, v6
	v_and_or_b32 v8, v9, s16, v8
	v_cmp_ne_u32_e32 vcc, 0, v6
	v_lshrrev_b32_e32 v10, 8, v7
	v_bfe_u32 v12, v7, 20, 11
	v_cndmask_b32_e64 v6, 0, 1, vcc
	v_cmp_ne_u32_e32 vcc, 0, v8
	v_lshrrev_b32_e32 v13, 8, v9
	v_bfe_u32 v14, v9, 20, 11
	v_sub_u32_e32 v15, 0x3f1, v12
	v_cndmask_b32_e64 v8, 0, 1, vcc
	v_and_or_b32 v6, v10, s15, v6
	v_sub_u32_e32 v16, 0x3f1, v14
	v_med3_i32 v10, v15, 0, 13
	v_and_or_b32 v8, v13, s15, v8
	v_or_b32_e32 v15, 0x1000, v6
	v_add_u32_e32 v12, 0xfffffc10, v12
	v_med3_i32 v13, v16, 0, 13
	v_cmp_ne_u32_e32 vcc, 0, v6
	v_or_b32_e32 v17, 0x1000, v8
	v_lshrrev_b32_e32 v19, v10, v15
	v_add_u32_e32 v14, 0xfffffc10, v14
	v_lshl_or_b32 v16, v12, 12, v6
	v_cndmask_b32_e64 v6, 0, 1, vcc
	v_cmp_ne_u32_e32 vcc, 0, v8
	v_lshrrev_b32_e32 v20, v13, v17
	v_lshlrev_b32_e32 v10, v10, v19
	v_lshl_or_b32 v18, v14, 12, v8
	v_cndmask_b32_e64 v8, 0, 1, vcc
	v_lshlrev_b32_e32 v13, v13, v20
	v_cmp_ne_u32_e32 vcc, v10, v15
	v_lshl_or_b32 v6, v6, 9, v2
	v_lshl_or_b32 v8, v8, 9, v2
	v_cndmask_b32_e64 v10, 0, 1, vcc
	v_cmp_ne_u32_e32 vcc, v13, v17
	v_or_b32_e32 v10, v19, v10
	v_and_b32_sdwa v7, v7, s14 dst_sel:DWORD dst_unused:UNUSED_PAD src0_sel:WORD_1 src1_sel:DWORD
	v_cndmask_b32_e64 v13, 0, 1, vcc
	v_cmp_gt_i32_e32 vcc, 1, v12
	v_or_b32_e32 v13, v20, v13
	v_lshrrev_b32_e32 v9, 16, v9
	v_cndmask_b32_e32 v10, v16, v10, vcc
	v_cmp_gt_i32_e32 vcc, 1, v14
	v_and_b32_e32 v15, 7, v10
	v_cmp_eq_u32_e64 s[0:1], 3, v15
	v_cndmask_b32_e32 v13, v18, v13, vcc
	v_cmp_lt_i32_e32 vcc, 5, v15
	v_lshrrev_b32_e32 v10, 2, v10
	v_and_b32_e32 v16, 7, v13
	s_or_b64 vcc, s[0:1], vcc
	v_cmp_lt_i32_e64 s[2:3], 5, v16
	v_cmp_eq_u32_e64 s[4:5], 3, v16
	v_addc_co_u32_e32 v10, vcc, 0, v10, vcc
	v_lshrrev_b32_e32 v13, 2, v13
	s_or_b64 vcc, s[4:5], s[2:3]
	v_addc_co_u32_e32 v13, vcc, 0, v13, vcc
	v_cmp_gt_i32_e32 vcc, 31, v12
	s_nop 1
	v_cndmask_b32_e32 v10, v2, v10, vcc
	v_cmp_gt_i32_e32 vcc, 31, v14
	s_nop 1
	v_cndmask_b32_e32 v13, v2, v13, vcc
	v_cmp_eq_u32_e32 vcc, s10, v12
	s_nop 1
	v_cndmask_b32_e32 v6, v10, v6, vcc
	v_cmp_eq_u32_e32 vcc, s10, v14
	v_bitop3_b32 v6, v7, s17, v6 bitop3:0xc8
	s_nop 0
	v_cndmask_b32_e32 v8, v13, v8, vcc
	v_and_or_b32 v8, v9, s14, v8
	v_lshl_or_b32 v6, v8, 16, v6
	global_store_dword v[4:5], v6, off
	global_load_dword v8, v[0:1], off offset:1520
	v_add_u32_e32 v6, 0x1400, v11
	ds_read2_b32 v[6:7], v6 offset0:124 offset1:232
	v_mad_u64_u32 v[4:5], s[0:1], s8, v3, v[4:5]
	v_add_u32_e32 v5, s9, v5
	s_waitcnt lgkmcnt(0)
	v_lshrrev_b32_e32 v9, 16, v6
	s_waitcnt vmcnt(0)
	v_mul_f16_sdwa v10, v9, v8 dst_sel:DWORD dst_unused:UNUSED_PAD src0_sel:DWORD src1_sel:WORD_1
	v_mul_f16_sdwa v12, v6, v8 dst_sel:DWORD dst_unused:UNUSED_PAD src0_sel:DWORD src1_sel:WORD_1
	v_fma_f16 v6, v6, v8, v10
	v_fma_f16 v8, v8, v9, -v12
	v_cvt_f32_f16_e32 v6, v6
	v_cvt_f32_f16_e32 v10, v8
	v_cvt_f64_f32_e32 v[8:9], v6
	v_cvt_f64_f32_e32 v[12:13], v10
	v_mul_f64 v[8:9], v[8:9], s[6:7]
	v_mul_f64 v[12:13], v[12:13], s[6:7]
	v_and_or_b32 v6, v9, s16, v8
	v_and_or_b32 v12, v13, s16, v12
	v_cmp_ne_u32_e32 vcc, 0, v6
	v_lshrrev_b32_e32 v8, 8, v9
	v_bfe_u32 v10, v9, 20, 11
	v_cndmask_b32_e64 v6, 0, 1, vcc
	v_cmp_ne_u32_e32 vcc, 0, v12
	v_lshrrev_b32_e32 v14, 8, v13
	v_bfe_u32 v15, v13, 20, 11
	v_sub_u32_e32 v16, 0x3f1, v10
	v_cndmask_b32_e64 v12, 0, 1, vcc
	v_and_or_b32 v6, v8, s15, v6
	v_sub_u32_e32 v17, 0x3f1, v15
	v_med3_i32 v8, v16, 0, 13
	v_and_or_b32 v12, v14, s15, v12
	v_or_b32_e32 v16, 0x1000, v6
	v_add_u32_e32 v10, 0xfffffc10, v10
	v_med3_i32 v14, v17, 0, 13
	v_cmp_ne_u32_e32 vcc, 0, v6
	v_or_b32_e32 v18, 0x1000, v12
	v_lshrrev_b32_e32 v20, v8, v16
	v_add_u32_e32 v15, 0xfffffc10, v15
	v_lshl_or_b32 v17, v10, 12, v6
	v_cndmask_b32_e64 v6, 0, 1, vcc
	v_cmp_ne_u32_e32 vcc, 0, v12
	v_lshrrev_b32_e32 v21, v14, v18
	v_lshlrev_b32_e32 v8, v8, v20
	v_lshl_or_b32 v19, v15, 12, v12
	v_cndmask_b32_e64 v12, 0, 1, vcc
	v_lshlrev_b32_e32 v14, v14, v21
	v_cmp_ne_u32_e32 vcc, v8, v16
	v_lshl_or_b32 v6, v6, 9, v2
	v_lshl_or_b32 v12, v12, 9, v2
	v_cndmask_b32_e64 v8, 0, 1, vcc
	v_cmp_ne_u32_e32 vcc, v14, v18
	v_or_b32_e32 v8, v20, v8
	v_and_b32_sdwa v9, v9, s14 dst_sel:DWORD dst_unused:UNUSED_PAD src0_sel:WORD_1 src1_sel:DWORD
	v_cndmask_b32_e64 v14, 0, 1, vcc
	v_cmp_gt_i32_e32 vcc, 1, v10
	v_or_b32_e32 v14, v21, v14
	v_lshrrev_b32_e32 v13, 16, v13
	v_cndmask_b32_e32 v8, v17, v8, vcc
	v_cmp_gt_i32_e32 vcc, 1, v15
	v_and_b32_e32 v16, 7, v8
	v_cmp_eq_u32_e64 s[0:1], 3, v16
	v_cndmask_b32_e32 v14, v19, v14, vcc
	v_cmp_lt_i32_e32 vcc, 5, v16
	v_lshrrev_b32_e32 v8, 2, v8
	v_and_b32_e32 v17, 7, v14
	s_or_b64 vcc, s[0:1], vcc
	v_cmp_lt_i32_e64 s[2:3], 5, v17
	v_cmp_eq_u32_e64 s[4:5], 3, v17
	v_addc_co_u32_e32 v8, vcc, 0, v8, vcc
	v_lshrrev_b32_e32 v14, 2, v14
	s_or_b64 vcc, s[4:5], s[2:3]
	v_addc_co_u32_e32 v14, vcc, 0, v14, vcc
	v_cmp_gt_i32_e32 vcc, 31, v10
	s_nop 1
	v_cndmask_b32_e32 v8, v2, v8, vcc
	v_cmp_gt_i32_e32 vcc, 31, v15
	s_nop 1
	v_cndmask_b32_e32 v14, v2, v14, vcc
	v_cmp_eq_u32_e32 vcc, s10, v10
	s_nop 1
	v_cndmask_b32_e32 v6, v8, v6, vcc
	v_cmp_eq_u32_e32 vcc, s10, v15
	v_bitop3_b32 v6, v9, s17, v6 bitop3:0xc8
	s_nop 0
	v_cndmask_b32_e32 v8, v14, v12, vcc
	v_and_or_b32 v8, v13, s14, v8
	v_lshl_or_b32 v6, v8, 16, v6
	global_store_dword v[4:5], v6, off
	global_load_dword v6, v[0:1], off offset:1952
	v_lshrrev_b32_e32 v8, 16, v7
	v_mad_u64_u32 v[4:5], s[0:1], s8, v3, v[4:5]
	v_add_u32_e32 v5, s9, v5
	s_waitcnt vmcnt(0)
	v_mul_f16_sdwa v9, v8, v6 dst_sel:DWORD dst_unused:UNUSED_PAD src0_sel:DWORD src1_sel:WORD_1
	v_mul_f16_sdwa v10, v7, v6 dst_sel:DWORD dst_unused:UNUSED_PAD src0_sel:DWORD src1_sel:WORD_1
	v_fma_f16 v7, v7, v6, v9
	v_fma_f16 v6, v6, v8, -v10
	v_cvt_f32_f16_e32 v7, v7
	v_cvt_f32_f16_e32 v8, v6
	v_cvt_f64_f32_e32 v[6:7], v7
	v_cvt_f64_f32_e32 v[8:9], v8
	v_mul_f64 v[6:7], v[6:7], s[6:7]
	v_mul_f64 v[8:9], v[8:9], s[6:7]
	v_and_or_b32 v6, v7, s16, v6
	v_and_or_b32 v8, v9, s16, v8
	v_cmp_ne_u32_e32 vcc, 0, v6
	v_lshrrev_b32_e32 v10, 8, v7
	v_bfe_u32 v12, v7, 20, 11
	v_cndmask_b32_e64 v6, 0, 1, vcc
	v_cmp_ne_u32_e32 vcc, 0, v8
	v_lshrrev_b32_e32 v13, 8, v9
	v_bfe_u32 v14, v9, 20, 11
	v_sub_u32_e32 v15, 0x3f1, v12
	v_cndmask_b32_e64 v8, 0, 1, vcc
	v_and_or_b32 v6, v10, s15, v6
	v_sub_u32_e32 v16, 0x3f1, v14
	v_med3_i32 v10, v15, 0, 13
	v_and_or_b32 v8, v13, s15, v8
	v_or_b32_e32 v15, 0x1000, v6
	v_add_u32_e32 v12, 0xfffffc10, v12
	v_med3_i32 v13, v16, 0, 13
	v_cmp_ne_u32_e32 vcc, 0, v6
	v_or_b32_e32 v17, 0x1000, v8
	v_lshrrev_b32_e32 v19, v10, v15
	v_add_u32_e32 v14, 0xfffffc10, v14
	v_lshl_or_b32 v16, v12, 12, v6
	v_cndmask_b32_e64 v6, 0, 1, vcc
	v_cmp_ne_u32_e32 vcc, 0, v8
	v_lshrrev_b32_e32 v20, v13, v17
	v_lshlrev_b32_e32 v10, v10, v19
	v_lshl_or_b32 v18, v14, 12, v8
	v_cndmask_b32_e64 v8, 0, 1, vcc
	v_lshlrev_b32_e32 v13, v13, v20
	v_cmp_ne_u32_e32 vcc, v10, v15
	v_lshl_or_b32 v6, v6, 9, v2
	v_lshl_or_b32 v8, v8, 9, v2
	v_cndmask_b32_e64 v10, 0, 1, vcc
	v_cmp_ne_u32_e32 vcc, v13, v17
	v_or_b32_e32 v10, v19, v10
	v_and_b32_sdwa v7, v7, s14 dst_sel:DWORD dst_unused:UNUSED_PAD src0_sel:WORD_1 src1_sel:DWORD
	v_cndmask_b32_e64 v13, 0, 1, vcc
	v_cmp_gt_i32_e32 vcc, 1, v12
	v_or_b32_e32 v13, v20, v13
	v_lshrrev_b32_e32 v9, 16, v9
	v_cndmask_b32_e32 v10, v16, v10, vcc
	v_cmp_gt_i32_e32 vcc, 1, v14
	v_and_b32_e32 v15, 7, v10
	v_cmp_eq_u32_e64 s[0:1], 3, v15
	v_cndmask_b32_e32 v13, v18, v13, vcc
	v_cmp_lt_i32_e32 vcc, 5, v15
	v_lshrrev_b32_e32 v10, 2, v10
	v_and_b32_e32 v16, 7, v13
	s_or_b64 vcc, s[0:1], vcc
	v_cmp_lt_i32_e64 s[2:3], 5, v16
	v_cmp_eq_u32_e64 s[4:5], 3, v16
	v_addc_co_u32_e32 v10, vcc, 0, v10, vcc
	v_lshrrev_b32_e32 v13, 2, v13
	s_or_b64 vcc, s[4:5], s[2:3]
	v_addc_co_u32_e32 v13, vcc, 0, v13, vcc
	v_cmp_gt_i32_e32 vcc, 31, v12
	s_nop 1
	v_cndmask_b32_e32 v10, v2, v10, vcc
	v_cmp_gt_i32_e32 vcc, 31, v14
	s_nop 1
	v_cndmask_b32_e32 v13, v2, v13, vcc
	v_cmp_eq_u32_e32 vcc, s10, v12
	s_nop 1
	v_cndmask_b32_e32 v6, v10, v6, vcc
	v_cmp_eq_u32_e32 vcc, s10, v14
	v_bitop3_b32 v6, v7, s17, v6 bitop3:0xc8
	s_nop 0
	v_cndmask_b32_e32 v8, v13, v8, vcc
	v_and_or_b32 v8, v9, s14, v8
	v_lshl_or_b32 v6, v8, 16, v6
	global_store_dword v[4:5], v6, off
	global_load_dword v8, v[0:1], off offset:2384
	v_add_u32_e32 v6, 0x1800, v11
	ds_read2_b32 v[6:7], v6 offset0:84 offset1:192
	v_mad_u64_u32 v[4:5], s[0:1], s8, v3, v[4:5]
	v_add_u32_e32 v5, s9, v5
	s_waitcnt lgkmcnt(0)
	v_lshrrev_b32_e32 v9, 16, v6
	s_waitcnt vmcnt(0)
	v_mul_f16_sdwa v10, v9, v8 dst_sel:DWORD dst_unused:UNUSED_PAD src0_sel:DWORD src1_sel:WORD_1
	v_mul_f16_sdwa v11, v6, v8 dst_sel:DWORD dst_unused:UNUSED_PAD src0_sel:DWORD src1_sel:WORD_1
	v_fma_f16 v6, v6, v8, v10
	v_fma_f16 v8, v8, v9, -v11
	v_cvt_f32_f16_e32 v6, v6
	v_cvt_f32_f16_e32 v10, v8
	v_cvt_f64_f32_e32 v[8:9], v6
	v_cvt_f64_f32_e32 v[10:11], v10
	v_mul_f64 v[8:9], v[8:9], s[6:7]
	v_mul_f64 v[10:11], v[10:11], s[6:7]
	v_and_or_b32 v6, v9, s16, v8
	v_and_or_b32 v10, v11, s16, v10
	v_cmp_ne_u32_e32 vcc, 0, v6
	v_lshrrev_b32_e32 v8, 8, v9
	v_bfe_u32 v12, v9, 20, 11
	v_cndmask_b32_e64 v6, 0, 1, vcc
	v_cmp_ne_u32_e32 vcc, 0, v10
	v_lshrrev_b32_e32 v13, 8, v11
	v_bfe_u32 v14, v11, 20, 11
	v_sub_u32_e32 v15, 0x3f1, v12
	v_cndmask_b32_e64 v10, 0, 1, vcc
	v_and_or_b32 v6, v8, s15, v6
	v_sub_u32_e32 v16, 0x3f1, v14
	v_med3_i32 v8, v15, 0, 13
	v_and_or_b32 v10, v13, s15, v10
	v_or_b32_e32 v15, 0x1000, v6
	v_add_u32_e32 v12, 0xfffffc10, v12
	v_med3_i32 v13, v16, 0, 13
	v_cmp_ne_u32_e32 vcc, 0, v6
	v_or_b32_e32 v17, 0x1000, v10
	v_lshrrev_b32_e32 v19, v8, v15
	v_add_u32_e32 v14, 0xfffffc10, v14
	v_lshl_or_b32 v16, v12, 12, v6
	v_cndmask_b32_e64 v6, 0, 1, vcc
	v_cmp_ne_u32_e32 vcc, 0, v10
	v_lshrrev_b32_e32 v20, v13, v17
	v_lshlrev_b32_e32 v8, v8, v19
	v_lshl_or_b32 v18, v14, 12, v10
	v_cndmask_b32_e64 v10, 0, 1, vcc
	v_lshlrev_b32_e32 v13, v13, v20
	v_cmp_ne_u32_e32 vcc, v8, v15
	v_lshl_or_b32 v6, v6, 9, v2
	v_lshl_or_b32 v10, v10, 9, v2
	v_cndmask_b32_e64 v8, 0, 1, vcc
	v_cmp_ne_u32_e32 vcc, v13, v17
	v_or_b32_e32 v8, v19, v8
	v_and_b32_sdwa v9, v9, s14 dst_sel:DWORD dst_unused:UNUSED_PAD src0_sel:WORD_1 src1_sel:DWORD
	v_cndmask_b32_e64 v13, 0, 1, vcc
	v_cmp_gt_i32_e32 vcc, 1, v12
	v_or_b32_e32 v13, v20, v13
	v_lshrrev_b32_e32 v11, 16, v11
	v_cndmask_b32_e32 v8, v16, v8, vcc
	v_cmp_gt_i32_e32 vcc, 1, v14
	v_and_b32_e32 v15, 7, v8
	v_cmp_eq_u32_e64 s[0:1], 3, v15
	v_cndmask_b32_e32 v13, v18, v13, vcc
	v_cmp_lt_i32_e32 vcc, 5, v15
	v_lshrrev_b32_e32 v8, 2, v8
	v_and_b32_e32 v16, 7, v13
	s_or_b64 vcc, s[0:1], vcc
	v_cmp_lt_i32_e64 s[2:3], 5, v16
	v_cmp_eq_u32_e64 s[4:5], 3, v16
	v_addc_co_u32_e32 v8, vcc, 0, v8, vcc
	v_lshrrev_b32_e32 v13, 2, v13
	s_or_b64 vcc, s[4:5], s[2:3]
	v_addc_co_u32_e32 v13, vcc, 0, v13, vcc
	v_cmp_gt_i32_e32 vcc, 31, v12
	s_nop 1
	v_cndmask_b32_e32 v8, v2, v8, vcc
	v_cmp_gt_i32_e32 vcc, 31, v14
	s_nop 1
	v_cndmask_b32_e32 v13, v2, v13, vcc
	v_cmp_eq_u32_e32 vcc, s10, v12
	s_nop 1
	v_cndmask_b32_e32 v6, v8, v6, vcc
	v_cmp_eq_u32_e32 vcc, s10, v14
	v_bitop3_b32 v6, v9, s17, v6 bitop3:0xc8
	s_nop 0
	v_cndmask_b32_e32 v8, v13, v10, vcc
	v_and_or_b32 v8, v11, s14, v8
	v_lshl_or_b32 v6, v8, 16, v6
	global_store_dword v[4:5], v6, off
	global_load_dword v0, v[0:1], off offset:2816
	v_lshrrev_b32_e32 v1, 16, v7
	s_waitcnt vmcnt(0)
	v_mul_f16_sdwa v6, v1, v0 dst_sel:DWORD dst_unused:UNUSED_PAD src0_sel:DWORD src1_sel:WORD_1
	v_mul_f16_sdwa v8, v7, v0 dst_sel:DWORD dst_unused:UNUSED_PAD src0_sel:DWORD src1_sel:WORD_1
	v_fma_f16 v6, v7, v0, v6
	v_fma_f16 v0, v0, v1, -v8
	v_cvt_f32_f16_e32 v6, v6
	v_cvt_f32_f16_e32 v7, v0
	v_mad_u64_u32 v[0:1], s[0:1], s8, v3, v[4:5]
	v_cvt_f64_f32_e32 v[4:5], v6
	v_cvt_f64_f32_e32 v[6:7], v7
	v_mul_f64 v[4:5], v[4:5], s[6:7]
	v_mul_f64 v[6:7], v[6:7], s[6:7]
	v_and_or_b32 v3, v5, s16, v4
	v_and_or_b32 v6, v7, s16, v6
	v_cmp_ne_u32_e32 vcc, 0, v3
	v_lshrrev_b32_e32 v4, 8, v5
	v_bfe_u32 v8, v5, 20, 11
	v_cndmask_b32_e64 v3, 0, 1, vcc
	v_cmp_ne_u32_e32 vcc, 0, v6
	v_lshrrev_b32_e32 v9, 8, v7
	v_bfe_u32 v10, v7, 20, 11
	v_sub_u32_e32 v11, 0x3f1, v8
	v_cndmask_b32_e64 v6, 0, 1, vcc
	v_and_or_b32 v3, v4, s15, v3
	v_sub_u32_e32 v12, 0x3f1, v10
	v_med3_i32 v4, v11, 0, 13
	v_and_or_b32 v6, v9, s15, v6
	v_or_b32_e32 v11, 0x1000, v3
	v_add_u32_e32 v8, 0xfffffc10, v8
	v_med3_i32 v9, v12, 0, 13
	v_cmp_ne_u32_e32 vcc, 0, v3
	v_or_b32_e32 v13, 0x1000, v6
	v_lshrrev_b32_e32 v15, v4, v11
	v_add_u32_e32 v10, 0xfffffc10, v10
	v_lshl_or_b32 v12, v8, 12, v3
	v_cndmask_b32_e64 v3, 0, 1, vcc
	v_cmp_ne_u32_e32 vcc, 0, v6
	v_lshrrev_b32_e32 v16, v9, v13
	v_lshlrev_b32_e32 v4, v4, v15
	v_lshl_or_b32 v14, v10, 12, v6
	v_cndmask_b32_e64 v6, 0, 1, vcc
	v_lshlrev_b32_e32 v9, v9, v16
	v_cmp_ne_u32_e32 vcc, v4, v11
	v_lshl_or_b32 v3, v3, 9, v2
	v_lshl_or_b32 v6, v6, 9, v2
	v_cndmask_b32_e64 v4, 0, 1, vcc
	v_cmp_ne_u32_e32 vcc, v9, v13
	v_or_b32_e32 v4, v15, v4
	v_and_b32_sdwa v5, v5, s14 dst_sel:DWORD dst_unused:UNUSED_PAD src0_sel:WORD_1 src1_sel:DWORD
	v_cndmask_b32_e64 v9, 0, 1, vcc
	v_cmp_gt_i32_e32 vcc, 1, v8
	v_or_b32_e32 v9, v16, v9
	v_lshrrev_b32_e32 v7, 16, v7
	v_cndmask_b32_e32 v4, v12, v4, vcc
	v_cmp_gt_i32_e32 vcc, 1, v10
	v_and_b32_e32 v11, 7, v4
	v_cmp_eq_u32_e64 s[0:1], 3, v11
	v_cndmask_b32_e32 v9, v14, v9, vcc
	v_cmp_lt_i32_e32 vcc, 5, v11
	v_lshrrev_b32_e32 v4, 2, v4
	v_and_b32_e32 v12, 7, v9
	s_or_b64 vcc, s[0:1], vcc
	v_cmp_lt_i32_e64 s[2:3], 5, v12
	v_cmp_eq_u32_e64 s[4:5], 3, v12
	v_addc_co_u32_e32 v4, vcc, 0, v4, vcc
	v_lshrrev_b32_e32 v9, 2, v9
	s_or_b64 vcc, s[4:5], s[2:3]
	v_addc_co_u32_e32 v9, vcc, 0, v9, vcc
	v_cmp_gt_i32_e32 vcc, 31, v8
	v_add_u32_e32 v1, s9, v1
	s_nop 0
	v_cndmask_b32_e32 v4, v2, v4, vcc
	v_cmp_gt_i32_e32 vcc, 31, v10
	s_nop 1
	v_cndmask_b32_e32 v2, v2, v9, vcc
	v_cmp_eq_u32_e32 vcc, s10, v8
	s_nop 1
	v_cndmask_b32_e32 v3, v4, v3, vcc
	v_cmp_eq_u32_e32 vcc, s10, v10
	v_bitop3_b32 v3, v5, s17, v3 bitop3:0xc8
	s_nop 0
	v_cndmask_b32_e32 v2, v2, v6, vcc
	v_and_or_b32 v2, v7, s14, v2
	v_lshl_or_b32 v2, v2, 16, v3
	global_store_dword v[0:1], v2, off
.LBB0_15:
	s_endpgm
	.section	.rodata,"a",@progbits
	.p2align	6, 0x0
	.amdhsa_kernel bluestein_single_back_len1836_dim1_half_op_CI_CI
		.amdhsa_group_segment_fixed_size 7344
		.amdhsa_private_segment_fixed_size 0
		.amdhsa_kernarg_size 104
		.amdhsa_user_sgpr_count 2
		.amdhsa_user_sgpr_dispatch_ptr 0
		.amdhsa_user_sgpr_queue_ptr 0
		.amdhsa_user_sgpr_kernarg_segment_ptr 1
		.amdhsa_user_sgpr_dispatch_id 0
		.amdhsa_user_sgpr_kernarg_preload_length 0
		.amdhsa_user_sgpr_kernarg_preload_offset 0
		.amdhsa_user_sgpr_private_segment_size 0
		.amdhsa_uses_dynamic_stack 0
		.amdhsa_enable_private_segment 0
		.amdhsa_system_sgpr_workgroup_id_x 1
		.amdhsa_system_sgpr_workgroup_id_y 0
		.amdhsa_system_sgpr_workgroup_id_z 0
		.amdhsa_system_sgpr_workgroup_info 0
		.amdhsa_system_vgpr_workitem_id 0
		.amdhsa_next_free_vgpr 206
		.amdhsa_next_free_sgpr 37
		.amdhsa_accum_offset 208
		.amdhsa_reserve_vcc 1
		.amdhsa_float_round_mode_32 0
		.amdhsa_float_round_mode_16_64 0
		.amdhsa_float_denorm_mode_32 3
		.amdhsa_float_denorm_mode_16_64 3
		.amdhsa_dx10_clamp 1
		.amdhsa_ieee_mode 1
		.amdhsa_fp16_overflow 0
		.amdhsa_tg_split 0
		.amdhsa_exception_fp_ieee_invalid_op 0
		.amdhsa_exception_fp_denorm_src 0
		.amdhsa_exception_fp_ieee_div_zero 0
		.amdhsa_exception_fp_ieee_overflow 0
		.amdhsa_exception_fp_ieee_underflow 0
		.amdhsa_exception_fp_ieee_inexact 0
		.amdhsa_exception_int_div_zero 0
	.end_amdhsa_kernel
	.text
.Lfunc_end0:
	.size	bluestein_single_back_len1836_dim1_half_op_CI_CI, .Lfunc_end0-bluestein_single_back_len1836_dim1_half_op_CI_CI
                                        ; -- End function
	.section	.AMDGPU.csdata,"",@progbits
; Kernel info:
; codeLenInByte = 30032
; NumSgprs: 43
; NumVgprs: 206
; NumAgprs: 0
; TotalNumVgprs: 206
; ScratchSize: 0
; MemoryBound: 0
; FloatMode: 240
; IeeeMode: 1
; LDSByteSize: 7344 bytes/workgroup (compile time only)
; SGPRBlocks: 5
; VGPRBlocks: 25
; NumSGPRsForWavesPerEU: 43
; NumVGPRsForWavesPerEU: 206
; AccumOffset: 208
; Occupancy: 2
; WaveLimiterHint : 1
; COMPUTE_PGM_RSRC2:SCRATCH_EN: 0
; COMPUTE_PGM_RSRC2:USER_SGPR: 2
; COMPUTE_PGM_RSRC2:TRAP_HANDLER: 0
; COMPUTE_PGM_RSRC2:TGID_X_EN: 1
; COMPUTE_PGM_RSRC2:TGID_Y_EN: 0
; COMPUTE_PGM_RSRC2:TGID_Z_EN: 0
; COMPUTE_PGM_RSRC2:TIDIG_COMP_CNT: 0
; COMPUTE_PGM_RSRC3_GFX90A:ACCUM_OFFSET: 51
; COMPUTE_PGM_RSRC3_GFX90A:TG_SPLIT: 0
	.text
	.p2alignl 6, 3212836864
	.fill 256, 4, 3212836864
	.type	__hip_cuid_9afb1e521314ca7d,@object ; @__hip_cuid_9afb1e521314ca7d
	.section	.bss,"aw",@nobits
	.globl	__hip_cuid_9afb1e521314ca7d
__hip_cuid_9afb1e521314ca7d:
	.byte	0                               ; 0x0
	.size	__hip_cuid_9afb1e521314ca7d, 1

	.ident	"AMD clang version 19.0.0git (https://github.com/RadeonOpenCompute/llvm-project roc-6.4.0 25133 c7fe45cf4b819c5991fe208aaa96edf142730f1d)"
	.section	".note.GNU-stack","",@progbits
	.addrsig
	.addrsig_sym __hip_cuid_9afb1e521314ca7d
	.amdgpu_metadata
---
amdhsa.kernels:
  - .agpr_count:     0
    .args:
      - .actual_access:  read_only
        .address_space:  global
        .offset:         0
        .size:           8
        .value_kind:     global_buffer
      - .actual_access:  read_only
        .address_space:  global
        .offset:         8
        .size:           8
        .value_kind:     global_buffer
      - .actual_access:  read_only
        .address_space:  global
        .offset:         16
        .size:           8
        .value_kind:     global_buffer
      - .actual_access:  read_only
        .address_space:  global
        .offset:         24
        .size:           8
        .value_kind:     global_buffer
      - .actual_access:  read_only
        .address_space:  global
        .offset:         32
        .size:           8
        .value_kind:     global_buffer
      - .offset:         40
        .size:           8
        .value_kind:     by_value
      - .address_space:  global
        .offset:         48
        .size:           8
        .value_kind:     global_buffer
      - .address_space:  global
        .offset:         56
        .size:           8
        .value_kind:     global_buffer
      - .address_space:  global
        .offset:         64
        .size:           8
        .value_kind:     global_buffer
      - .address_space:  global
        .offset:         72
        .size:           8
        .value_kind:     global_buffer
      - .offset:         80
        .size:           4
        .value_kind:     by_value
      - .address_space:  global
        .offset:         88
        .size:           8
        .value_kind:     global_buffer
      - .address_space:  global
        .offset:         96
        .size:           8
        .value_kind:     global_buffer
    .group_segment_fixed_size: 7344
    .kernarg_segment_align: 8
    .kernarg_segment_size: 104
    .language:       OpenCL C
    .language_version:
      - 2
      - 0
    .max_flat_workgroup_size: 153
    .name:           bluestein_single_back_len1836_dim1_half_op_CI_CI
    .private_segment_fixed_size: 0
    .sgpr_count:     43
    .sgpr_spill_count: 0
    .symbol:         bluestein_single_back_len1836_dim1_half_op_CI_CI.kd
    .uniform_work_group_size: 1
    .uses_dynamic_stack: false
    .vgpr_count:     206
    .vgpr_spill_count: 0
    .wavefront_size: 64
amdhsa.target:   amdgcn-amd-amdhsa--gfx950
amdhsa.version:
  - 1
  - 2
...

	.end_amdgpu_metadata
